;; amdgpu-corpus repo=ROCm/rocSOLVER kind=compiled arch=gfx1030 opt=O3
	.amdgcn_target "amdgcn-amd-amdhsa--gfx1030"
	.amdhsa_code_object_version 6
	.section	.text._ZN9rocsolver6v33100L6iota_nIfEEvPT_jS2_,"axG",@progbits,_ZN9rocsolver6v33100L6iota_nIfEEvPT_jS2_,comdat
	.globl	_ZN9rocsolver6v33100L6iota_nIfEEvPT_jS2_ ; -- Begin function _ZN9rocsolver6v33100L6iota_nIfEEvPT_jS2_
	.p2align	8
	.type	_ZN9rocsolver6v33100L6iota_nIfEEvPT_jS2_,@function
_ZN9rocsolver6v33100L6iota_nIfEEvPT_jS2_: ; @_ZN9rocsolver6v33100L6iota_nIfEEvPT_jS2_
; %bb.0:
	s_load_dwordx2 s[0:1], s[4:5], 0x8
	s_waitcnt lgkmcnt(0)
	v_cmp_gt_u32_e32 vcc_lo, s0, v0
	s_and_saveexec_b32 s0, vcc_lo
	s_cbranch_execz .LBB0_2
; %bb.1:
	s_load_dwordx2 s[2:3], s[4:5], 0x0
	v_cvt_f32_ubyte0_e32 v1, v0
	v_lshlrev_b32_e32 v0, 2, v0
	v_add_f32_e32 v1, s1, v1
	s_waitcnt lgkmcnt(0)
	global_store_dword v0, v1, s[2:3]
.LBB0_2:
	s_endpgm
	.section	.rodata,"a",@progbits
	.p2align	6, 0x0
	.amdhsa_kernel _ZN9rocsolver6v33100L6iota_nIfEEvPT_jS2_
		.amdhsa_group_segment_fixed_size 0
		.amdhsa_private_segment_fixed_size 0
		.amdhsa_kernarg_size 16
		.amdhsa_user_sgpr_count 6
		.amdhsa_user_sgpr_private_segment_buffer 1
		.amdhsa_user_sgpr_dispatch_ptr 0
		.amdhsa_user_sgpr_queue_ptr 0
		.amdhsa_user_sgpr_kernarg_segment_ptr 1
		.amdhsa_user_sgpr_dispatch_id 0
		.amdhsa_user_sgpr_flat_scratch_init 0
		.amdhsa_user_sgpr_private_segment_size 0
		.amdhsa_wavefront_size32 1
		.amdhsa_uses_dynamic_stack 0
		.amdhsa_system_sgpr_private_segment_wavefront_offset 0
		.amdhsa_system_sgpr_workgroup_id_x 1
		.amdhsa_system_sgpr_workgroup_id_y 0
		.amdhsa_system_sgpr_workgroup_id_z 0
		.amdhsa_system_sgpr_workgroup_info 0
		.amdhsa_system_vgpr_workitem_id 0
		.amdhsa_next_free_vgpr 2
		.amdhsa_next_free_sgpr 6
		.amdhsa_reserve_vcc 1
		.amdhsa_reserve_flat_scratch 0
		.amdhsa_float_round_mode_32 0
		.amdhsa_float_round_mode_16_64 0
		.amdhsa_float_denorm_mode_32 3
		.amdhsa_float_denorm_mode_16_64 3
		.amdhsa_dx10_clamp 1
		.amdhsa_ieee_mode 1
		.amdhsa_fp16_overflow 0
		.amdhsa_workgroup_processor_mode 1
		.amdhsa_memory_ordered 1
		.amdhsa_forward_progress 1
		.amdhsa_shared_vgpr_count 0
		.amdhsa_exception_fp_ieee_invalid_op 0
		.amdhsa_exception_fp_denorm_src 0
		.amdhsa_exception_fp_ieee_div_zero 0
		.amdhsa_exception_fp_ieee_overflow 0
		.amdhsa_exception_fp_ieee_underflow 0
		.amdhsa_exception_fp_ieee_inexact 0
		.amdhsa_exception_int_div_zero 0
	.end_amdhsa_kernel
	.section	.text._ZN9rocsolver6v33100L6iota_nIfEEvPT_jS2_,"axG",@progbits,_ZN9rocsolver6v33100L6iota_nIfEEvPT_jS2_,comdat
.Lfunc_end0:
	.size	_ZN9rocsolver6v33100L6iota_nIfEEvPT_jS2_, .Lfunc_end0-_ZN9rocsolver6v33100L6iota_nIfEEvPT_jS2_
                                        ; -- End function
	.set _ZN9rocsolver6v33100L6iota_nIfEEvPT_jS2_.num_vgpr, 2
	.set _ZN9rocsolver6v33100L6iota_nIfEEvPT_jS2_.num_agpr, 0
	.set _ZN9rocsolver6v33100L6iota_nIfEEvPT_jS2_.numbered_sgpr, 6
	.set _ZN9rocsolver6v33100L6iota_nIfEEvPT_jS2_.num_named_barrier, 0
	.set _ZN9rocsolver6v33100L6iota_nIfEEvPT_jS2_.private_seg_size, 0
	.set _ZN9rocsolver6v33100L6iota_nIfEEvPT_jS2_.uses_vcc, 1
	.set _ZN9rocsolver6v33100L6iota_nIfEEvPT_jS2_.uses_flat_scratch, 0
	.set _ZN9rocsolver6v33100L6iota_nIfEEvPT_jS2_.has_dyn_sized_stack, 0
	.set _ZN9rocsolver6v33100L6iota_nIfEEvPT_jS2_.has_recursion, 0
	.set _ZN9rocsolver6v33100L6iota_nIfEEvPT_jS2_.has_indirect_call, 0
	.section	.AMDGPU.csdata,"",@progbits
; Kernel info:
; codeLenInByte = 60
; TotalNumSgprs: 8
; NumVgprs: 2
; ScratchSize: 0
; MemoryBound: 0
; FloatMode: 240
; IeeeMode: 1
; LDSByteSize: 0 bytes/workgroup (compile time only)
; SGPRBlocks: 0
; VGPRBlocks: 0
; NumSGPRsForWavesPerEU: 8
; NumVGPRsForWavesPerEU: 2
; Occupancy: 16
; WaveLimiterHint : 0
; COMPUTE_PGM_RSRC2:SCRATCH_EN: 0
; COMPUTE_PGM_RSRC2:USER_SGPR: 6
; COMPUTE_PGM_RSRC2:TRAP_HANDLER: 0
; COMPUTE_PGM_RSRC2:TGID_X_EN: 1
; COMPUTE_PGM_RSRC2:TGID_Y_EN: 0
; COMPUTE_PGM_RSRC2:TGID_Z_EN: 0
; COMPUTE_PGM_RSRC2:TIDIG_COMP_CNT: 0
	.section	.text._ZN9rocsolver6v33100L16org2l_init_identIfPfEEviiiT0_iil,"axG",@progbits,_ZN9rocsolver6v33100L16org2l_init_identIfPfEEviiiT0_iil,comdat
	.globl	_ZN9rocsolver6v33100L16org2l_init_identIfPfEEviiiT0_iil ; -- Begin function _ZN9rocsolver6v33100L16org2l_init_identIfPfEEviiiT0_iil
	.p2align	8
	.type	_ZN9rocsolver6v33100L16org2l_init_identIfPfEEviiiT0_iil,@function
_ZN9rocsolver6v33100L16org2l_init_identIfPfEEviiiT0_iil: ; @_ZN9rocsolver6v33100L16org2l_init_identIfPfEEviiiT0_iil
; %bb.0:
	s_clause 0x1
	s_load_dword s0, s[4:5], 0x34
	s_load_dwordx4 s[12:15], s[4:5], 0x0
	s_waitcnt lgkmcnt(0)
	s_lshr_b32 s1, s0, 16
	s_and_b32 s0, s0, 0xffff
	v_mad_u64_u32 v[2:3], null, s6, s0, v[0:1]
	v_mad_u64_u32 v[0:1], null, s7, s1, v[1:2]
	v_cmp_gt_u32_e32 vcc_lo, s12, v2
	v_cmp_gt_u32_e64 s0, s13, v0
	s_and_b32 s0, vcc_lo, s0
	s_and_saveexec_b32 s1, s0
	s_cbranch_execz .LBB1_5
; %bb.1:
	s_sub_i32 s0, s12, s13
	v_mov_b32_e32 v1, 1.0
	v_add_nc_u32_e32 v3, s0, v0
	s_mov_b32 s2, exec_lo
	v_cmp_eq_u32_e64 s1, v2, v3
	v_cmpx_ne_u32_e64 v2, v3
; %bb.2:
	s_sub_i32 s0, s13, s14
	v_cmp_gt_u32_e32 vcc_lo, v2, v3
	v_cmp_gt_u32_e64 s0, s0, v0
	v_mov_b32_e32 v1, 0
	s_andn2_b32 s1, s1, exec_lo
	s_or_b32 s0, vcc_lo, s0
	s_and_b32 s0, s0, exec_lo
	s_or_b32 s1, s1, s0
; %bb.3:
	s_or_b32 exec_lo, exec_lo, s2
	s_and_b32 exec_lo, exec_lo, s1
	s_cbranch_execz .LBB1_5
; %bb.4:
	s_clause 0x1
	s_load_dwordx4 s[0:3], s[4:5], 0x10
	s_load_dwordx2 s[4:5], s[4:5], 0x20
	s_waitcnt lgkmcnt(0)
	v_mad_u64_u32 v[2:3], null, v0, s3, v[2:3]
	s_mul_i32 s5, s5, s8
	s_mul_hi_u32 s6, s4, s8
	v_mov_b32_e32 v3, 0
	s_mul_i32 s4, s4, s8
	s_add_i32 s5, s6, s5
	s_ashr_i32 s7, s2, 31
	s_lshl_b64 s[4:5], s[4:5], 2
	s_mov_b32 s6, s2
	v_lshlrev_b64 v[2:3], 2, v[2:3]
	s_add_u32 s2, s0, s4
	s_addc_u32 s3, s1, s5
	s_lshl_b64 s[0:1], s[6:7], 2
	s_add_u32 s0, s2, s0
	s_addc_u32 s1, s3, s1
	v_add_co_u32 v2, vcc_lo, s0, v2
	v_add_co_ci_u32_e64 v3, null, s1, v3, vcc_lo
	global_store_dword v[2:3], v1, off
.LBB1_5:
	s_endpgm
	.section	.rodata,"a",@progbits
	.p2align	6, 0x0
	.amdhsa_kernel _ZN9rocsolver6v33100L16org2l_init_identIfPfEEviiiT0_iil
		.amdhsa_group_segment_fixed_size 0
		.amdhsa_private_segment_fixed_size 0
		.amdhsa_kernarg_size 296
		.amdhsa_user_sgpr_count 6
		.amdhsa_user_sgpr_private_segment_buffer 1
		.amdhsa_user_sgpr_dispatch_ptr 0
		.amdhsa_user_sgpr_queue_ptr 0
		.amdhsa_user_sgpr_kernarg_segment_ptr 1
		.amdhsa_user_sgpr_dispatch_id 0
		.amdhsa_user_sgpr_flat_scratch_init 0
		.amdhsa_user_sgpr_private_segment_size 0
		.amdhsa_wavefront_size32 1
		.amdhsa_uses_dynamic_stack 0
		.amdhsa_system_sgpr_private_segment_wavefront_offset 0
		.amdhsa_system_sgpr_workgroup_id_x 1
		.amdhsa_system_sgpr_workgroup_id_y 1
		.amdhsa_system_sgpr_workgroup_id_z 1
		.amdhsa_system_sgpr_workgroup_info 0
		.amdhsa_system_vgpr_workitem_id 1
		.amdhsa_next_free_vgpr 4
		.amdhsa_next_free_sgpr 16
		.amdhsa_reserve_vcc 1
		.amdhsa_reserve_flat_scratch 0
		.amdhsa_float_round_mode_32 0
		.amdhsa_float_round_mode_16_64 0
		.amdhsa_float_denorm_mode_32 3
		.amdhsa_float_denorm_mode_16_64 3
		.amdhsa_dx10_clamp 1
		.amdhsa_ieee_mode 1
		.amdhsa_fp16_overflow 0
		.amdhsa_workgroup_processor_mode 1
		.amdhsa_memory_ordered 1
		.amdhsa_forward_progress 1
		.amdhsa_shared_vgpr_count 0
		.amdhsa_exception_fp_ieee_invalid_op 0
		.amdhsa_exception_fp_denorm_src 0
		.amdhsa_exception_fp_ieee_div_zero 0
		.amdhsa_exception_fp_ieee_overflow 0
		.amdhsa_exception_fp_ieee_underflow 0
		.amdhsa_exception_fp_ieee_inexact 0
		.amdhsa_exception_int_div_zero 0
	.end_amdhsa_kernel
	.section	.text._ZN9rocsolver6v33100L16org2l_init_identIfPfEEviiiT0_iil,"axG",@progbits,_ZN9rocsolver6v33100L16org2l_init_identIfPfEEviiiT0_iil,comdat
.Lfunc_end1:
	.size	_ZN9rocsolver6v33100L16org2l_init_identIfPfEEviiiT0_iil, .Lfunc_end1-_ZN9rocsolver6v33100L16org2l_init_identIfPfEEviiiT0_iil
                                        ; -- End function
	.set _ZN9rocsolver6v33100L16org2l_init_identIfPfEEviiiT0_iil.num_vgpr, 4
	.set _ZN9rocsolver6v33100L16org2l_init_identIfPfEEviiiT0_iil.num_agpr, 0
	.set _ZN9rocsolver6v33100L16org2l_init_identIfPfEEviiiT0_iil.numbered_sgpr, 16
	.set _ZN9rocsolver6v33100L16org2l_init_identIfPfEEviiiT0_iil.num_named_barrier, 0
	.set _ZN9rocsolver6v33100L16org2l_init_identIfPfEEviiiT0_iil.private_seg_size, 0
	.set _ZN9rocsolver6v33100L16org2l_init_identIfPfEEviiiT0_iil.uses_vcc, 1
	.set _ZN9rocsolver6v33100L16org2l_init_identIfPfEEviiiT0_iil.uses_flat_scratch, 0
	.set _ZN9rocsolver6v33100L16org2l_init_identIfPfEEviiiT0_iil.has_dyn_sized_stack, 0
	.set _ZN9rocsolver6v33100L16org2l_init_identIfPfEEviiiT0_iil.has_recursion, 0
	.set _ZN9rocsolver6v33100L16org2l_init_identIfPfEEviiiT0_iil.has_indirect_call, 0
	.section	.AMDGPU.csdata,"",@progbits
; Kernel info:
; codeLenInByte = 276
; TotalNumSgprs: 18
; NumVgprs: 4
; ScratchSize: 0
; MemoryBound: 0
; FloatMode: 240
; IeeeMode: 1
; LDSByteSize: 0 bytes/workgroup (compile time only)
; SGPRBlocks: 0
; VGPRBlocks: 0
; NumSGPRsForWavesPerEU: 18
; NumVGPRsForWavesPerEU: 4
; Occupancy: 16
; WaveLimiterHint : 0
; COMPUTE_PGM_RSRC2:SCRATCH_EN: 0
; COMPUTE_PGM_RSRC2:USER_SGPR: 6
; COMPUTE_PGM_RSRC2:TRAP_HANDLER: 0
; COMPUTE_PGM_RSRC2:TGID_X_EN: 1
; COMPUTE_PGM_RSRC2:TGID_Y_EN: 1
; COMPUTE_PGM_RSRC2:TGID_Z_EN: 1
; COMPUTE_PGM_RSRC2:TIDIG_COMP_CNT: 1
	.section	.text._ZN9rocsolver6v33100L16larf_left_kernelILi1024EfiPfEEvT1_S3_T2_lS3_lPKT0_lS4_lS3_l,"axG",@progbits,_ZN9rocsolver6v33100L16larf_left_kernelILi1024EfiPfEEvT1_S3_T2_lS3_lPKT0_lS4_lS3_l,comdat
	.globl	_ZN9rocsolver6v33100L16larf_left_kernelILi1024EfiPfEEvT1_S3_T2_lS3_lPKT0_lS4_lS3_l ; -- Begin function _ZN9rocsolver6v33100L16larf_left_kernelILi1024EfiPfEEvT1_S3_T2_lS3_lPKT0_lS4_lS3_l
	.p2align	8
	.type	_ZN9rocsolver6v33100L16larf_left_kernelILi1024EfiPfEEvT1_S3_T2_lS3_lPKT0_lS4_lS3_l,@function
_ZN9rocsolver6v33100L16larf_left_kernelILi1024EfiPfEEvT1_S3_T2_lS3_lPKT0_lS4_lS3_l: ; @_ZN9rocsolver6v33100L16larf_left_kernelILi1024EfiPfEEvT1_S3_T2_lS3_lPKT0_lS4_lS3_l
; %bb.0:
	s_clause 0x4
	s_load_dword s9, s[4:5], 0x0
	s_load_dwordx2 s[0:1], s[4:5], 0x50
	s_load_dword s2, s[4:5], 0x48
	s_load_dwordx2 s[10:11], s[4:5], 0x40
	s_load_dwordx8 s[12:19], s[4:5], 0x20
	v_mov_b32_e32 v5, 0
	v_lshlrev_b32_e32 v3, 2, v0
	s_ashr_i32 s25, s8, 31
	s_waitcnt lgkmcnt(0)
	v_cmp_gt_i32_e32 vcc_lo, s9, v0
	s_mul_i32 s22, s0, s25
	s_mul_hi_u32 s23, s0, s8
	s_mul_i32 s24, s1, s8
	s_mul_i32 s6, s0, s8
	s_mul_hi_i32 s21, s7, s2
	s_mul_i32 s20, s7, s2
	s_and_saveexec_b32 s26, vcc_lo
	s_cbranch_execz .LBB2_6
; %bb.1:
	s_clause 0x1
	s_load_dword s28, s[4:5], 0x18
	s_load_dwordx4 s[0:3], s[4:5], 0x8
	s_sub_i32 s5, 1, s9
	s_mul_i32 s7, s12, s25
	s_mul_hi_u32 s30, s12, s8
	s_mul_i32 s4, s12, s8
	s_mul_i32 s31, s13, s8
	v_add3_u32 v4, v3, 0, 0x80
	v_mov_b32_e32 v6, v0
	v_mov_b32_e32 v5, v4
	s_waitcnt lgkmcnt(0)
	s_ashr_i32 s29, s28, 31
	v_mad_i64_i32 v[1:2], null, s28, v0, 0
	v_cmp_lt_i64_e64 s27, s[28:29], 1
	s_mul_i32 s5, s28, s5
	s_and_b32 s12, s27, exec_lo
	s_cselect_b32 s12, s5, 0
	s_add_i32 s5, s30, s7
	s_ashr_i32 s13, s12, 31
	s_add_i32 s5, s5, s31
	s_lshl_b64 s[12:13], s[12:13], 2
	s_lshl_b64 s[2:3], s[2:3], 2
	;; [unrolled: 1-line block ×3, first 2 shown]
	v_lshlrev_b64 v[1:2], 2, v[1:2]
	s_add_u32 s0, s0, s12
	s_addc_u32 s1, s1, s13
	s_add_u32 s0, s0, s2
	s_addc_u32 s1, s1, s3
	;; [unrolled: 2-line block ×3, first 2 shown]
	v_add_co_u32 v1, s0, s0, v1
	v_add_co_ci_u32_e64 v2, null, s1, v2, s0
	s_mov_b32 s4, 0
	s_lshl_b64 s[2:3], s[28:29], 12
	.p2align	6
.LBB2_2:                                ; =>This Inner Loop Header: Depth=1
	global_load_dword v7, v[1:2], off
	v_add_nc_u32_e32 v6, 0x400, v6
	v_add_co_u32 v1, s0, v1, s2
	v_add_co_ci_u32_e64 v2, null, s3, v2, s0
	v_cmp_le_i32_e64 s1, s9, v6
	s_or_b32 s4, s1, s4
	s_waitcnt vmcnt(0)
	ds_write_b32 v5, v7
	v_add_nc_u32_e32 v5, 0x1000, v5
	s_andn2_b32 exec_lo, exec_lo, s4
	s_cbranch_execnz .LBB2_2
; %bb.3:
	s_or_b32 exec_lo, exec_lo, s4
	s_add_i32 s0, s23, s22
	v_lshlrev_b32_e32 v1, 2, v0
	s_add_i32 s7, s0, s24
	s_lshl_b64 s[0:1], s[20:21], 2
	s_lshl_b64 s[2:3], s[6:7], 2
	v_mov_b32_e32 v5, 0
	s_add_u32 s2, s2, s0
	s_addc_u32 s3, s3, s1
	s_lshl_b64 s[0:1], s[10:11], 2
	v_mov_b32_e32 v6, v0
	s_add_u32 s0, s2, s0
	s_addc_u32 s1, s3, s1
	s_add_u32 s0, s18, s0
	s_addc_u32 s1, s19, s1
	v_add_co_u32 v1, s0, s0, v1
	v_add_co_ci_u32_e64 v2, null, s1, 0, s0
	s_mov_b32 s2, 0
	.p2align	6
.LBB2_4:                                ; =>This Inner Loop Header: Depth=1
	global_load_dword v7, v[1:2], off
	ds_read_b32 v8, v4
	v_add_nc_u32_e32 v6, 0x400, v6
	v_add_co_u32 v1, s0, 0x1000, v1
	v_add_nc_u32_e32 v4, 0x1000, v4
	v_add_co_ci_u32_e64 v2, null, 0, v2, s0
	v_cmp_le_i32_e64 s1, s9, v6
	s_or_b32 s2, s1, s2
	s_waitcnt vmcnt(0) lgkmcnt(0)
	v_fmac_f32_e32 v5, v7, v8
	s_andn2_b32 exec_lo, exec_lo, s2
	s_cbranch_execnz .LBB2_4
; %bb.5:
	s_or_b32 exec_lo, exec_lo, s2
.LBB2_6:
	s_or_b32 exec_lo, exec_lo, s26
	v_mbcnt_lo_u32_b32 v1, -1, 0
	s_mov_b32 s1, exec_lo
	v_cmp_ne_u32_e64 s0, 31, v1
	v_add_co_ci_u32_e64 v2, null, 0, v1, s0
	v_cmp_gt_u32_e64 s0, 30, v1
	v_lshlrev_b32_e32 v2, 2, v2
	v_cndmask_b32_e64 v4, 0, 2, s0
	v_cmp_gt_u32_e64 s0, 28, v1
	ds_bpermute_b32 v2, v2, v5
	v_add_lshl_u32 v4, v4, v1, 2
	s_waitcnt lgkmcnt(0)
	v_add_f32_e32 v2, v5, v2
	v_cndmask_b32_e64 v5, 0, 4, s0
	v_cmp_gt_u32_e64 s0, 24, v1
	ds_bpermute_b32 v4, v4, v2
	v_add_lshl_u32 v5, v5, v1, 2
	s_waitcnt lgkmcnt(0)
	v_add_f32_e32 v2, v2, v4
	ds_bpermute_b32 v4, v5, v2
	v_cndmask_b32_e64 v5, 0, 8, s0
	v_add_lshl_u32 v5, v5, v1, 2
	v_lshl_or_b32 v1, v1, 2, 64
	s_waitcnt lgkmcnt(0)
	v_add_f32_e32 v2, v2, v4
	ds_bpermute_b32 v4, v5, v2
	s_waitcnt lgkmcnt(0)
	v_add_f32_e32 v2, v2, v4
	v_and_b32_e32 v4, 31, v0
	ds_bpermute_b32 v1, v1, v2
	s_waitcnt lgkmcnt(0)
	v_add_f32_e32 v1, v2, v1
	v_cmpx_eq_u32_e32 0, v4
; %bb.7:
	v_lshrrev_b32_e32 v2, 3, v0
	v_add_nc_u32_e32 v2, 0, v2
	ds_write_b32 v2, v1
; %bb.8:
	s_or_b32 exec_lo, exec_lo, s1
	s_mov_b32 s1, exec_lo
	s_waitcnt lgkmcnt(0)
	s_barrier
	buffer_gl0_inv
	v_cmpx_eq_u32_e32 0, v0
	s_cbranch_execz .LBB2_10
; %bb.9:
	v_mov_b32_e32 v12, 0
	ds_read2_b32 v[4:5], v12 offset0:1 offset1:2
	ds_read2_b32 v[6:7], v12 offset0:3 offset1:4
	;; [unrolled: 1-line block ×4, first 2 shown]
	s_waitcnt lgkmcnt(3)
	v_add_f32_e32 v1, v1, v4
	v_add_f32_e32 v1, v1, v5
	s_waitcnt lgkmcnt(2)
	v_add_f32_e32 v1, v1, v6
	v_add_f32_e32 v4, v1, v7
	ds_read2_b32 v[1:2], v12 offset0:9 offset1:10
	s_waitcnt lgkmcnt(2)
	v_add_f32_e32 v4, v4, v8
	v_add_f32_e32 v6, v4, v9
	ds_read2_b32 v[4:5], v12 offset0:11 offset1:12
	;; [unrolled: 4-line block ×3, first 2 shown]
	ds_read2_b32 v[8:9], v12 offset0:15 offset1:16
	s_waitcnt lgkmcnt(3)
	v_add_f32_e32 v1, v10, v1
	v_add_f32_e32 v1, v1, v2
	s_waitcnt lgkmcnt(2)
	v_add_f32_e32 v1, v1, v4
	v_add_f32_e32 v4, v1, v5
	ds_read2_b32 v[1:2], v12 offset0:17 offset1:18
	s_waitcnt lgkmcnt(2)
	v_add_f32_e32 v4, v4, v6
	v_add_f32_e32 v6, v4, v7
	ds_read2_b32 v[4:5], v12 offset0:19 offset1:20
	;; [unrolled: 4-line block ×3, first 2 shown]
	ds_read2_b32 v[8:9], v12 offset0:23 offset1:24
	s_waitcnt lgkmcnt(3)
	v_add_f32_e32 v1, v10, v1
	v_add_f32_e32 v1, v1, v2
	s_waitcnt lgkmcnt(2)
	v_add_f32_e32 v1, v1, v4
	v_add_f32_e32 v1, v1, v5
	s_waitcnt lgkmcnt(1)
	v_add_f32_e32 v4, v1, v6
	ds_read2_b32 v[1:2], v12 offset0:25 offset1:26
	v_add_f32_e32 v4, v4, v7
	s_waitcnt lgkmcnt(1)
	v_add_f32_e32 v6, v4, v8
	ds_read2_b32 v[4:5], v12 offset0:27 offset1:28
	v_add_f32_e32 v8, v6, v9
	ds_read2_b32 v[6:7], v12 offset0:29 offset1:30
	ds_read_b32 v9, v12 offset:124
	s_waitcnt lgkmcnt(3)
	v_add_f32_e32 v1, v8, v1
	v_add_f32_e32 v1, v1, v2
	s_waitcnt lgkmcnt(2)
	v_add_f32_e32 v1, v1, v4
	v_add_f32_e32 v1, v1, v5
	;; [unrolled: 3-line block ×3, first 2 shown]
	s_waitcnt lgkmcnt(0)
	v_add_f32_e32 v1, v1, v9
	ds_write_b32 v12, v1
.LBB2_10:
	s_or_b32 exec_lo, exec_lo, s1
	s_waitcnt lgkmcnt(0)
	s_barrier
	buffer_gl0_inv
	s_and_saveexec_b32 s0, vcc_lo
	s_cbranch_execz .LBB2_13
; %bb.11:
	s_mul_i32 s0, s16, s25
	s_mul_hi_u32 s1, s16, s8
	s_mul_i32 s2, s17, s8
	s_add_i32 s0, s1, s0
	v_mov_b32_e32 v1, 0
	s_add_i32 s1, s0, s2
	s_mul_i32 s0, s16, s8
	v_add3_u32 v4, v3, 0, 0x80
	s_lshl_b64 s[0:1], s[0:1], 2
	ds_read_b32 v1, v1
	s_add_u32 s0, s14, s0
	s_addc_u32 s1, s15, s1
	s_load_dword s4, s[0:1], 0x0
	s_add_i32 s0, s23, s22
	s_add_i32 s7, s0, s24
	s_lshl_b64 s[0:1], s[20:21], 2
	s_lshl_b64 s[2:3], s[6:7], 2
	s_add_u32 s2, s2, s0
	s_addc_u32 s3, s3, s1
	s_lshl_b64 s[0:1], s[10:11], 2
	s_add_u32 s0, s2, s0
	s_addc_u32 s1, s3, s1
	s_add_u32 s0, s18, s0
	s_addc_u32 s1, s19, s1
	s_waitcnt lgkmcnt(0)
	v_mul_f32_e64 v5, v1, -s4
	v_add_co_u32 v1, s0, s0, v3
	v_add_co_ci_u32_e64 v2, null, s1, 0, s0
	s_mov_b32 s1, 0
	.p2align	6
.LBB2_12:                               ; =>This Inner Loop Header: Depth=1
	global_load_dword v3, v[1:2], off
	ds_read_b32 v6, v4
	v_add_nc_u32_e32 v0, 0x400, v0
	v_add_nc_u32_e32 v4, 0x1000, v4
	v_cmp_le_i32_e32 vcc_lo, s9, v0
	s_or_b32 s1, vcc_lo, s1
	s_waitcnt vmcnt(0) lgkmcnt(0)
	v_fmac_f32_e32 v3, v5, v6
	global_store_dword v[1:2], v3, off
	v_add_co_u32 v1, s0, 0x1000, v1
	v_add_co_ci_u32_e64 v2, null, 0, v2, s0
	s_andn2_b32 exec_lo, exec_lo, s1
	s_cbranch_execnz .LBB2_12
.LBB2_13:
	s_endpgm
	.section	.rodata,"a",@progbits
	.p2align	6, 0x0
	.amdhsa_kernel _ZN9rocsolver6v33100L16larf_left_kernelILi1024EfiPfEEvT1_S3_T2_lS3_lPKT0_lS4_lS3_l
		.amdhsa_group_segment_fixed_size 0
		.amdhsa_private_segment_fixed_size 0
		.amdhsa_kernarg_size 88
		.amdhsa_user_sgpr_count 6
		.amdhsa_user_sgpr_private_segment_buffer 1
		.amdhsa_user_sgpr_dispatch_ptr 0
		.amdhsa_user_sgpr_queue_ptr 0
		.amdhsa_user_sgpr_kernarg_segment_ptr 1
		.amdhsa_user_sgpr_dispatch_id 0
		.amdhsa_user_sgpr_flat_scratch_init 0
		.amdhsa_user_sgpr_private_segment_size 0
		.amdhsa_wavefront_size32 1
		.amdhsa_uses_dynamic_stack 0
		.amdhsa_system_sgpr_private_segment_wavefront_offset 0
		.amdhsa_system_sgpr_workgroup_id_x 1
		.amdhsa_system_sgpr_workgroup_id_y 1
		.amdhsa_system_sgpr_workgroup_id_z 1
		.amdhsa_system_sgpr_workgroup_info 0
		.amdhsa_system_vgpr_workitem_id 0
		.amdhsa_next_free_vgpr 13
		.amdhsa_next_free_sgpr 32
		.amdhsa_reserve_vcc 1
		.amdhsa_reserve_flat_scratch 0
		.amdhsa_float_round_mode_32 0
		.amdhsa_float_round_mode_16_64 0
		.amdhsa_float_denorm_mode_32 3
		.amdhsa_float_denorm_mode_16_64 3
		.amdhsa_dx10_clamp 1
		.amdhsa_ieee_mode 1
		.amdhsa_fp16_overflow 0
		.amdhsa_workgroup_processor_mode 1
		.amdhsa_memory_ordered 1
		.amdhsa_forward_progress 1
		.amdhsa_shared_vgpr_count 0
		.amdhsa_exception_fp_ieee_invalid_op 0
		.amdhsa_exception_fp_denorm_src 0
		.amdhsa_exception_fp_ieee_div_zero 0
		.amdhsa_exception_fp_ieee_overflow 0
		.amdhsa_exception_fp_ieee_underflow 0
		.amdhsa_exception_fp_ieee_inexact 0
		.amdhsa_exception_int_div_zero 0
	.end_amdhsa_kernel
	.section	.text._ZN9rocsolver6v33100L16larf_left_kernelILi1024EfiPfEEvT1_S3_T2_lS3_lPKT0_lS4_lS3_l,"axG",@progbits,_ZN9rocsolver6v33100L16larf_left_kernelILi1024EfiPfEEvT1_S3_T2_lS3_lPKT0_lS4_lS3_l,comdat
.Lfunc_end2:
	.size	_ZN9rocsolver6v33100L16larf_left_kernelILi1024EfiPfEEvT1_S3_T2_lS3_lPKT0_lS4_lS3_l, .Lfunc_end2-_ZN9rocsolver6v33100L16larf_left_kernelILi1024EfiPfEEvT1_S3_T2_lS3_lPKT0_lS4_lS3_l
                                        ; -- End function
	.set _ZN9rocsolver6v33100L16larf_left_kernelILi1024EfiPfEEvT1_S3_T2_lS3_lPKT0_lS4_lS3_l.num_vgpr, 13
	.set _ZN9rocsolver6v33100L16larf_left_kernelILi1024EfiPfEEvT1_S3_T2_lS3_lPKT0_lS4_lS3_l.num_agpr, 0
	.set _ZN9rocsolver6v33100L16larf_left_kernelILi1024EfiPfEEvT1_S3_T2_lS3_lPKT0_lS4_lS3_l.numbered_sgpr, 32
	.set _ZN9rocsolver6v33100L16larf_left_kernelILi1024EfiPfEEvT1_S3_T2_lS3_lPKT0_lS4_lS3_l.num_named_barrier, 0
	.set _ZN9rocsolver6v33100L16larf_left_kernelILi1024EfiPfEEvT1_S3_T2_lS3_lPKT0_lS4_lS3_l.private_seg_size, 0
	.set _ZN9rocsolver6v33100L16larf_left_kernelILi1024EfiPfEEvT1_S3_T2_lS3_lPKT0_lS4_lS3_l.uses_vcc, 1
	.set _ZN9rocsolver6v33100L16larf_left_kernelILi1024EfiPfEEvT1_S3_T2_lS3_lPKT0_lS4_lS3_l.uses_flat_scratch, 0
	.set _ZN9rocsolver6v33100L16larf_left_kernelILi1024EfiPfEEvT1_S3_T2_lS3_lPKT0_lS4_lS3_l.has_dyn_sized_stack, 0
	.set _ZN9rocsolver6v33100L16larf_left_kernelILi1024EfiPfEEvT1_S3_T2_lS3_lPKT0_lS4_lS3_l.has_recursion, 0
	.set _ZN9rocsolver6v33100L16larf_left_kernelILi1024EfiPfEEvT1_S3_T2_lS3_lPKT0_lS4_lS3_l.has_indirect_call, 0
	.section	.AMDGPU.csdata,"",@progbits
; Kernel info:
; codeLenInByte = 1496
; TotalNumSgprs: 34
; NumVgprs: 13
; ScratchSize: 0
; MemoryBound: 0
; FloatMode: 240
; IeeeMode: 1
; LDSByteSize: 0 bytes/workgroup (compile time only)
; SGPRBlocks: 0
; VGPRBlocks: 1
; NumSGPRsForWavesPerEU: 34
; NumVGPRsForWavesPerEU: 13
; Occupancy: 16
; WaveLimiterHint : 0
; COMPUTE_PGM_RSRC2:SCRATCH_EN: 0
; COMPUTE_PGM_RSRC2:USER_SGPR: 6
; COMPUTE_PGM_RSRC2:TRAP_HANDLER: 0
; COMPUTE_PGM_RSRC2:TGID_X_EN: 1
; COMPUTE_PGM_RSRC2:TGID_Y_EN: 1
; COMPUTE_PGM_RSRC2:TGID_Z_EN: 1
; COMPUTE_PGM_RSRC2:TIDIG_COMP_CNT: 0
	.section	.text._ZN9rocsolver6v33100L17larf_right_kernelILi1024EfiPfEEvT1_S3_T2_lS3_lPKT0_lS4_lS3_l,"axG",@progbits,_ZN9rocsolver6v33100L17larf_right_kernelILi1024EfiPfEEvT1_S3_T2_lS3_lPKT0_lS4_lS3_l,comdat
	.globl	_ZN9rocsolver6v33100L17larf_right_kernelILi1024EfiPfEEvT1_S3_T2_lS3_lPKT0_lS4_lS3_l ; -- Begin function _ZN9rocsolver6v33100L17larf_right_kernelILi1024EfiPfEEvT1_S3_T2_lS3_lPKT0_lS4_lS3_l
	.p2align	8
	.type	_ZN9rocsolver6v33100L17larf_right_kernelILi1024EfiPfEEvT1_S3_T2_lS3_lPKT0_lS4_lS3_l,@function
_ZN9rocsolver6v33100L17larf_right_kernelILi1024EfiPfEEvT1_S3_T2_lS3_lPKT0_lS4_lS3_l: ; @_ZN9rocsolver6v33100L17larf_right_kernelILi1024EfiPfEEvT1_S3_T2_lS3_lPKT0_lS4_lS3_l
; %bb.0:
	s_clause 0x4
	s_load_dword s9, s[4:5], 0x4
	s_load_dwordx2 s[0:1], s[4:5], 0x50
	s_load_dwordx2 s[20:21], s[4:5], 0x40
	s_load_dword s6, s[4:5], 0x48
	s_load_dwordx8 s[12:19], s[4:5], 0x20
	v_mov_b32_e32 v5, 0
	v_lshlrev_b32_e32 v3, 2, v0
	s_ashr_i32 s27, s8, 31
	s_mov_b32 s10, s7
	s_ashr_i32 s11, s7, 31
	s_waitcnt lgkmcnt(0)
	v_cmp_gt_i32_e32 vcc_lo, s9, v0
	s_mul_i32 s24, s0, s27
	s_mul_hi_u32 s26, s0, s8
	s_mul_i32 s25, s1, s8
	s_mul_i32 s22, s0, s8
	s_and_saveexec_b32 s28, vcc_lo
	s_cbranch_execz .LBB3_6
; %bb.1:
	s_clause 0x1
	s_load_dword s30, s[4:5], 0x18
	s_load_dwordx4 s[0:3], s[4:5], 0x8
	s_sub_i32 s5, 1, s9
	s_mul_i32 s7, s12, s27
	s_mul_hi_u32 s29, s12, s8
	s_mul_i32 s4, s12, s8
	s_mul_i32 s33, s13, s8
	v_add3_u32 v4, v3, 0, 0x80
	v_mov_b32_e32 v6, v0
	v_mov_b32_e32 v5, v4
	s_waitcnt lgkmcnt(0)
	s_ashr_i32 s31, s30, 31
	v_mad_i64_i32 v[1:2], null, s30, v0, 0
	v_cmp_lt_i64_e64 s23, s[30:31], 1
	s_mul_i32 s5, s30, s5
	s_and_b32 s12, s23, exec_lo
	s_cselect_b32 s12, s5, 0
	s_add_i32 s5, s29, s7
	s_ashr_i32 s13, s12, 31
	s_add_i32 s5, s5, s33
	s_lshl_b64 s[12:13], s[12:13], 2
	s_lshl_b64 s[2:3], s[2:3], 2
	;; [unrolled: 1-line block ×3, first 2 shown]
	v_lshlrev_b64 v[1:2], 2, v[1:2]
	s_add_u32 s0, s0, s12
	s_addc_u32 s1, s1, s13
	s_add_u32 s0, s0, s2
	s_addc_u32 s1, s1, s3
	;; [unrolled: 2-line block ×3, first 2 shown]
	v_add_co_u32 v1, s0, s0, v1
	v_add_co_ci_u32_e64 v2, null, s1, v2, s0
	s_mov_b32 s4, 0
	s_lshl_b64 s[2:3], s[30:31], 12
	.p2align	6
.LBB3_2:                                ; =>This Inner Loop Header: Depth=1
	global_load_dword v7, v[1:2], off
	v_add_nc_u32_e32 v6, 0x400, v6
	v_add_co_u32 v1, s0, v1, s2
	v_add_co_ci_u32_e64 v2, null, s3, v2, s0
	v_cmp_le_i32_e64 s1, s9, v6
	s_or_b32 s4, s1, s4
	s_waitcnt vmcnt(0)
	ds_write_b32 v5, v7
	v_add_nc_u32_e32 v5, 0x1000, v5
	s_andn2_b32 exec_lo, exec_lo, s4
	s_cbranch_execnz .LBB3_2
; %bb.3:
	s_or_b32 exec_lo, exec_lo, s4
	v_mad_i64_i32 v[1:2], null, s6, v0, 0
	s_add_i32 s2, s26, s24
	s_ashr_i32 s7, s6, 31
	s_add_i32 s23, s2, s25
	s_lshl_b64 s[2:3], s[10:11], 2
	s_lshl_b64 s[0:1], s[20:21], 2
	;; [unrolled: 1-line block ×3, first 2 shown]
	v_lshlrev_b64 v[1:2], 2, v[1:2]
	s_add_u32 s2, s18, s2
	s_addc_u32 s3, s19, s3
	s_add_u32 s0, s2, s0
	s_addc_u32 s1, s3, s1
	;; [unrolled: 2-line block ×3, first 2 shown]
	v_add_co_u32 v1, s0, s0, v1
	v_add_co_ci_u32_e64 v2, null, s1, v2, s0
	v_mov_b32_e32 v5, 0
	v_mov_b32_e32 v6, v0
	s_lshl_b64 s[2:3], s[6:7], 12
	s_mov_b32 s4, 0
	.p2align	6
.LBB3_4:                                ; =>This Inner Loop Header: Depth=1
	global_load_dword v7, v[1:2], off
	ds_read_b32 v8, v4
	v_add_nc_u32_e32 v6, 0x400, v6
	v_add_co_u32 v1, s0, v1, s2
	v_add_nc_u32_e32 v4, 0x1000, v4
	v_add_co_ci_u32_e64 v2, null, s3, v2, s0
	v_cmp_le_i32_e64 s1, s9, v6
	s_or_b32 s4, s1, s4
	s_waitcnt vmcnt(0) lgkmcnt(0)
	v_fmac_f32_e32 v5, v7, v8
	s_andn2_b32 exec_lo, exec_lo, s4
	s_cbranch_execnz .LBB3_4
; %bb.5:
	s_or_b32 exec_lo, exec_lo, s4
.LBB3_6:
	s_or_b32 exec_lo, exec_lo, s28
	v_mbcnt_lo_u32_b32 v1, -1, 0
	s_mov_b32 s1, exec_lo
	v_cmp_ne_u32_e64 s0, 31, v1
	v_add_co_ci_u32_e64 v2, null, 0, v1, s0
	v_cmp_gt_u32_e64 s0, 30, v1
	v_lshlrev_b32_e32 v2, 2, v2
	v_cndmask_b32_e64 v4, 0, 2, s0
	v_cmp_gt_u32_e64 s0, 28, v1
	ds_bpermute_b32 v2, v2, v5
	v_add_lshl_u32 v4, v4, v1, 2
	s_waitcnt lgkmcnt(0)
	v_add_f32_e32 v2, v5, v2
	v_cndmask_b32_e64 v5, 0, 4, s0
	v_cmp_gt_u32_e64 s0, 24, v1
	ds_bpermute_b32 v4, v4, v2
	v_add_lshl_u32 v5, v5, v1, 2
	s_waitcnt lgkmcnt(0)
	v_add_f32_e32 v2, v2, v4
	ds_bpermute_b32 v4, v5, v2
	v_cndmask_b32_e64 v5, 0, 8, s0
	v_add_lshl_u32 v5, v5, v1, 2
	v_lshl_or_b32 v1, v1, 2, 64
	s_waitcnt lgkmcnt(0)
	v_add_f32_e32 v2, v2, v4
	ds_bpermute_b32 v4, v5, v2
	s_waitcnt lgkmcnt(0)
	v_add_f32_e32 v2, v2, v4
	v_and_b32_e32 v4, 31, v0
	ds_bpermute_b32 v1, v1, v2
	s_waitcnt lgkmcnt(0)
	v_add_f32_e32 v1, v2, v1
	v_cmpx_eq_u32_e32 0, v4
; %bb.7:
	v_lshrrev_b32_e32 v2, 3, v0
	v_add_nc_u32_e32 v2, 0, v2
	ds_write_b32 v2, v1
; %bb.8:
	s_or_b32 exec_lo, exec_lo, s1
	s_mov_b32 s1, exec_lo
	s_waitcnt lgkmcnt(0)
	s_barrier
	buffer_gl0_inv
	v_cmpx_eq_u32_e32 0, v0
	s_cbranch_execz .LBB3_10
; %bb.9:
	v_mov_b32_e32 v12, 0
	ds_read2_b32 v[4:5], v12 offset0:1 offset1:2
	ds_read2_b32 v[6:7], v12 offset0:3 offset1:4
	;; [unrolled: 1-line block ×4, first 2 shown]
	s_waitcnt lgkmcnt(3)
	v_add_f32_e32 v1, v1, v4
	v_add_f32_e32 v1, v1, v5
	s_waitcnt lgkmcnt(2)
	v_add_f32_e32 v1, v1, v6
	v_add_f32_e32 v4, v1, v7
	ds_read2_b32 v[1:2], v12 offset0:9 offset1:10
	s_waitcnt lgkmcnt(2)
	v_add_f32_e32 v4, v4, v8
	v_add_f32_e32 v6, v4, v9
	ds_read2_b32 v[4:5], v12 offset0:11 offset1:12
	s_waitcnt lgkmcnt(2)
	v_add_f32_e32 v6, v6, v10
	v_add_f32_e32 v10, v6, v11
	ds_read2_b32 v[6:7], v12 offset0:13 offset1:14
	ds_read2_b32 v[8:9], v12 offset0:15 offset1:16
	s_waitcnt lgkmcnt(3)
	v_add_f32_e32 v1, v10, v1
	v_add_f32_e32 v1, v1, v2
	s_waitcnt lgkmcnt(2)
	v_add_f32_e32 v1, v1, v4
	v_add_f32_e32 v4, v1, v5
	ds_read2_b32 v[1:2], v12 offset0:17 offset1:18
	s_waitcnt lgkmcnt(2)
	v_add_f32_e32 v4, v4, v6
	v_add_f32_e32 v6, v4, v7
	ds_read2_b32 v[4:5], v12 offset0:19 offset1:20
	;; [unrolled: 4-line block ×3, first 2 shown]
	ds_read2_b32 v[8:9], v12 offset0:23 offset1:24
	s_waitcnt lgkmcnt(3)
	v_add_f32_e32 v1, v10, v1
	v_add_f32_e32 v1, v1, v2
	s_waitcnt lgkmcnt(2)
	v_add_f32_e32 v1, v1, v4
	v_add_f32_e32 v1, v1, v5
	s_waitcnt lgkmcnt(1)
	v_add_f32_e32 v4, v1, v6
	ds_read2_b32 v[1:2], v12 offset0:25 offset1:26
	v_add_f32_e32 v4, v4, v7
	s_waitcnt lgkmcnt(1)
	v_add_f32_e32 v6, v4, v8
	ds_read2_b32 v[4:5], v12 offset0:27 offset1:28
	v_add_f32_e32 v8, v6, v9
	ds_read2_b32 v[6:7], v12 offset0:29 offset1:30
	ds_read_b32 v9, v12 offset:124
	s_waitcnt lgkmcnt(3)
	v_add_f32_e32 v1, v8, v1
	v_add_f32_e32 v1, v1, v2
	s_waitcnt lgkmcnt(2)
	v_add_f32_e32 v1, v1, v4
	v_add_f32_e32 v1, v1, v5
	;; [unrolled: 3-line block ×3, first 2 shown]
	s_waitcnt lgkmcnt(0)
	v_add_f32_e32 v1, v1, v9
	ds_write_b32 v12, v1
.LBB3_10:
	s_or_b32 exec_lo, exec_lo, s1
	s_waitcnt lgkmcnt(0)
	s_barrier
	buffer_gl0_inv
	s_and_saveexec_b32 s0, vcc_lo
	s_cbranch_execz .LBB3_13
; %bb.11:
	s_mul_i32 s0, s16, s27
	s_mul_hi_u32 s1, s16, s8
	s_mul_i32 s2, s17, s8
	s_add_i32 s0, s1, s0
	v_mov_b32_e32 v1, 0
	s_add_i32 s1, s0, s2
	s_mul_i32 s0, s16, s8
	v_add3_u32 v3, v3, 0, 0x80
	s_lshl_b64 s[0:1], s[0:1], 2
	ds_read_b32 v4, v1
	s_add_u32 s0, s14, s0
	s_addc_u32 s1, s15, s1
	v_mad_i64_i32 v[1:2], null, s6, v0, 0
	s_load_dword s8, s[0:1], 0x0
	s_add_i32 s2, s26, s24
	s_ashr_i32 s7, s6, 31
	s_add_i32 s23, s2, s25
	s_lshl_b64 s[2:3], s[10:11], 2
	s_lshl_b64 s[0:1], s[20:21], 2
	;; [unrolled: 1-line block ×3, first 2 shown]
	v_lshlrev_b64 v[1:2], 2, v[1:2]
	s_add_u32 s2, s18, s2
	s_addc_u32 s3, s19, s3
	s_add_u32 s0, s2, s0
	s_addc_u32 s1, s3, s1
	;; [unrolled: 2-line block ×3, first 2 shown]
	v_add_co_u32 v1, vcc_lo, s0, v1
	v_add_co_ci_u32_e64 v2, null, s1, v2, vcc_lo
	s_mov_b32 s1, 0
	s_lshl_b64 s[2:3], s[6:7], 12
	s_waitcnt lgkmcnt(0)
	v_mul_f32_e64 v4, v4, -s8
	.p2align	6
.LBB3_12:                               ; =>This Inner Loop Header: Depth=1
	global_load_dword v5, v[1:2], off
	ds_read_b32 v6, v3
	v_add_nc_u32_e32 v0, 0x400, v0
	v_add_nc_u32_e32 v3, 0x1000, v3
	v_cmp_le_i32_e32 vcc_lo, s9, v0
	s_or_b32 s1, vcc_lo, s1
	s_waitcnt vmcnt(0) lgkmcnt(0)
	v_fmac_f32_e32 v5, v4, v6
	global_store_dword v[1:2], v5, off
	v_add_co_u32 v1, s0, v1, s2
	v_add_co_ci_u32_e64 v2, null, s3, v2, s0
	s_andn2_b32 exec_lo, exec_lo, s1
	s_cbranch_execnz .LBB3_12
.LBB3_13:
	s_endpgm
	.section	.rodata,"a",@progbits
	.p2align	6, 0x0
	.amdhsa_kernel _ZN9rocsolver6v33100L17larf_right_kernelILi1024EfiPfEEvT1_S3_T2_lS3_lPKT0_lS4_lS3_l
		.amdhsa_group_segment_fixed_size 0
		.amdhsa_private_segment_fixed_size 0
		.amdhsa_kernarg_size 88
		.amdhsa_user_sgpr_count 6
		.amdhsa_user_sgpr_private_segment_buffer 1
		.amdhsa_user_sgpr_dispatch_ptr 0
		.amdhsa_user_sgpr_queue_ptr 0
		.amdhsa_user_sgpr_kernarg_segment_ptr 1
		.amdhsa_user_sgpr_dispatch_id 0
		.amdhsa_user_sgpr_flat_scratch_init 0
		.amdhsa_user_sgpr_private_segment_size 0
		.amdhsa_wavefront_size32 1
		.amdhsa_uses_dynamic_stack 0
		.amdhsa_system_sgpr_private_segment_wavefront_offset 0
		.amdhsa_system_sgpr_workgroup_id_x 1
		.amdhsa_system_sgpr_workgroup_id_y 1
		.amdhsa_system_sgpr_workgroup_id_z 1
		.amdhsa_system_sgpr_workgroup_info 0
		.amdhsa_system_vgpr_workitem_id 0
		.amdhsa_next_free_vgpr 13
		.amdhsa_next_free_sgpr 34
		.amdhsa_reserve_vcc 1
		.amdhsa_reserve_flat_scratch 0
		.amdhsa_float_round_mode_32 0
		.amdhsa_float_round_mode_16_64 0
		.amdhsa_float_denorm_mode_32 3
		.amdhsa_float_denorm_mode_16_64 3
		.amdhsa_dx10_clamp 1
		.amdhsa_ieee_mode 1
		.amdhsa_fp16_overflow 0
		.amdhsa_workgroup_processor_mode 1
		.amdhsa_memory_ordered 1
		.amdhsa_forward_progress 1
		.amdhsa_shared_vgpr_count 0
		.amdhsa_exception_fp_ieee_invalid_op 0
		.amdhsa_exception_fp_denorm_src 0
		.amdhsa_exception_fp_ieee_div_zero 0
		.amdhsa_exception_fp_ieee_overflow 0
		.amdhsa_exception_fp_ieee_underflow 0
		.amdhsa_exception_fp_ieee_inexact 0
		.amdhsa_exception_int_div_zero 0
	.end_amdhsa_kernel
	.section	.text._ZN9rocsolver6v33100L17larf_right_kernelILi1024EfiPfEEvT1_S3_T2_lS3_lPKT0_lS4_lS3_l,"axG",@progbits,_ZN9rocsolver6v33100L17larf_right_kernelILi1024EfiPfEEvT1_S3_T2_lS3_lPKT0_lS4_lS3_l,comdat
.Lfunc_end3:
	.size	_ZN9rocsolver6v33100L17larf_right_kernelILi1024EfiPfEEvT1_S3_T2_lS3_lPKT0_lS4_lS3_l, .Lfunc_end3-_ZN9rocsolver6v33100L17larf_right_kernelILi1024EfiPfEEvT1_S3_T2_lS3_lPKT0_lS4_lS3_l
                                        ; -- End function
	.set _ZN9rocsolver6v33100L17larf_right_kernelILi1024EfiPfEEvT1_S3_T2_lS3_lPKT0_lS4_lS3_l.num_vgpr, 13
	.set _ZN9rocsolver6v33100L17larf_right_kernelILi1024EfiPfEEvT1_S3_T2_lS3_lPKT0_lS4_lS3_l.num_agpr, 0
	.set _ZN9rocsolver6v33100L17larf_right_kernelILi1024EfiPfEEvT1_S3_T2_lS3_lPKT0_lS4_lS3_l.numbered_sgpr, 34
	.set _ZN9rocsolver6v33100L17larf_right_kernelILi1024EfiPfEEvT1_S3_T2_lS3_lPKT0_lS4_lS3_l.num_named_barrier, 0
	.set _ZN9rocsolver6v33100L17larf_right_kernelILi1024EfiPfEEvT1_S3_T2_lS3_lPKT0_lS4_lS3_l.private_seg_size, 0
	.set _ZN9rocsolver6v33100L17larf_right_kernelILi1024EfiPfEEvT1_S3_T2_lS3_lPKT0_lS4_lS3_l.uses_vcc, 1
	.set _ZN9rocsolver6v33100L17larf_right_kernelILi1024EfiPfEEvT1_S3_T2_lS3_lPKT0_lS4_lS3_l.uses_flat_scratch, 0
	.set _ZN9rocsolver6v33100L17larf_right_kernelILi1024EfiPfEEvT1_S3_T2_lS3_lPKT0_lS4_lS3_l.has_dyn_sized_stack, 0
	.set _ZN9rocsolver6v33100L17larf_right_kernelILi1024EfiPfEEvT1_S3_T2_lS3_lPKT0_lS4_lS3_l.has_recursion, 0
	.set _ZN9rocsolver6v33100L17larf_right_kernelILi1024EfiPfEEvT1_S3_T2_lS3_lPKT0_lS4_lS3_l.has_indirect_call, 0
	.section	.AMDGPU.csdata,"",@progbits
; Kernel info:
; codeLenInByte = 1492
; TotalNumSgprs: 36
; NumVgprs: 13
; ScratchSize: 0
; MemoryBound: 0
; FloatMode: 240
; IeeeMode: 1
; LDSByteSize: 0 bytes/workgroup (compile time only)
; SGPRBlocks: 0
; VGPRBlocks: 1
; NumSGPRsForWavesPerEU: 36
; NumVGPRsForWavesPerEU: 13
; Occupancy: 16
; WaveLimiterHint : 0
; COMPUTE_PGM_RSRC2:SCRATCH_EN: 0
; COMPUTE_PGM_RSRC2:USER_SGPR: 6
; COMPUTE_PGM_RSRC2:TRAP_HANDLER: 0
; COMPUTE_PGM_RSRC2:TGID_X_EN: 1
; COMPUTE_PGM_RSRC2:TGID_Y_EN: 1
; COMPUTE_PGM_RSRC2:TGID_Z_EN: 1
; COMPUTE_PGM_RSRC2:TIDIG_COMP_CNT: 0
	.section	.text._ZN9rocsolver6v33100L12subtract_tauIfPfEEviiT0_iilPT_l,"axG",@progbits,_ZN9rocsolver6v33100L12subtract_tauIfPfEEviiT0_iilPT_l,comdat
	.globl	_ZN9rocsolver6v33100L12subtract_tauIfPfEEviiT0_iilPT_l ; -- Begin function _ZN9rocsolver6v33100L12subtract_tauIfPfEEviiT0_iilPT_l
	.p2align	8
	.type	_ZN9rocsolver6v33100L12subtract_tauIfPfEEviiT0_iilPT_l,@function
_ZN9rocsolver6v33100L12subtract_tauIfPfEEviiT0_iilPT_l: ; @_ZN9rocsolver6v33100L12subtract_tauIfPfEEviiT0_iilPT_l
; %bb.0:
	s_clause 0x3
	s_load_dwordx2 s[12:13], s[4:5], 0x10
	s_load_dwordx4 s[0:3], s[4:5], 0x18
	s_load_dwordx2 s[14:15], s[4:5], 0x28
	s_load_dwordx4 s[8:11], s[4:5], 0x0
	v_mov_b32_e32 v0, 0
	s_waitcnt lgkmcnt(0)
	s_ashr_i32 s5, s12, 31
	s_mul_i32 s1, s1, s6
	s_mul_hi_u32 s7, s0, s6
	s_mul_i32 s0, s0, s6
	s_add_i32 s1, s7, s1
	s_mov_b32 s4, s12
	s_lshl_b64 s[0:1], s[0:1], 2
	s_mul_i32 s7, s15, s6
	s_add_u32 s10, s10, s0
	s_addc_u32 s11, s11, s1
	s_lshl_b64 s[0:1], s[4:5], 2
	s_mul_hi_u32 s12, s14, s6
	s_mul_i32 s4, s14, s6
	s_add_u32 s6, s10, s0
	s_addc_u32 s10, s11, s1
	s_add_i32 s5, s12, s7
	s_lshl_b64 s[0:1], s[4:5], 2
	s_add_u32 s0, s2, s0
	s_addc_u32 s1, s3, s1
	s_mul_i32 s2, s13, s9
	s_load_dword s4, s[0:1], 0x0
	s_add_i32 s2, s2, s8
	s_ashr_i32 s3, s2, 31
	s_lshl_b64 s[2:3], s[2:3], 2
	s_waitcnt lgkmcnt(0)
	s_xor_b32 s5, s4, 0x80000000
	v_sub_f32_e64 v2, 1.0, s4
	v_mov_b32_e32 v1, s5
	s_add_u32 s2, s6, s2
	s_addc_u32 s3, s10, s3
	global_store_dword v0, v1, s[0:1]
	global_store_dword v0, v2, s[2:3]
	s_endpgm
	.section	.rodata,"a",@progbits
	.p2align	6, 0x0
	.amdhsa_kernel _ZN9rocsolver6v33100L12subtract_tauIfPfEEviiT0_iilPT_l
		.amdhsa_group_segment_fixed_size 0
		.amdhsa_private_segment_fixed_size 0
		.amdhsa_kernarg_size 48
		.amdhsa_user_sgpr_count 6
		.amdhsa_user_sgpr_private_segment_buffer 1
		.amdhsa_user_sgpr_dispatch_ptr 0
		.amdhsa_user_sgpr_queue_ptr 0
		.amdhsa_user_sgpr_kernarg_segment_ptr 1
		.amdhsa_user_sgpr_dispatch_id 0
		.amdhsa_user_sgpr_flat_scratch_init 0
		.amdhsa_user_sgpr_private_segment_size 0
		.amdhsa_wavefront_size32 1
		.amdhsa_uses_dynamic_stack 0
		.amdhsa_system_sgpr_private_segment_wavefront_offset 0
		.amdhsa_system_sgpr_workgroup_id_x 1
		.amdhsa_system_sgpr_workgroup_id_y 0
		.amdhsa_system_sgpr_workgroup_id_z 0
		.amdhsa_system_sgpr_workgroup_info 0
		.amdhsa_system_vgpr_workitem_id 0
		.amdhsa_next_free_vgpr 3
		.amdhsa_next_free_sgpr 16
		.amdhsa_reserve_vcc 0
		.amdhsa_reserve_flat_scratch 0
		.amdhsa_float_round_mode_32 0
		.amdhsa_float_round_mode_16_64 0
		.amdhsa_float_denorm_mode_32 3
		.amdhsa_float_denorm_mode_16_64 3
		.amdhsa_dx10_clamp 1
		.amdhsa_ieee_mode 1
		.amdhsa_fp16_overflow 0
		.amdhsa_workgroup_processor_mode 1
		.amdhsa_memory_ordered 1
		.amdhsa_forward_progress 1
		.amdhsa_shared_vgpr_count 0
		.amdhsa_exception_fp_ieee_invalid_op 0
		.amdhsa_exception_fp_denorm_src 0
		.amdhsa_exception_fp_ieee_div_zero 0
		.amdhsa_exception_fp_ieee_overflow 0
		.amdhsa_exception_fp_ieee_underflow 0
		.amdhsa_exception_fp_ieee_inexact 0
		.amdhsa_exception_int_div_zero 0
	.end_amdhsa_kernel
	.section	.text._ZN9rocsolver6v33100L12subtract_tauIfPfEEviiT0_iilPT_l,"axG",@progbits,_ZN9rocsolver6v33100L12subtract_tauIfPfEEviiT0_iilPT_l,comdat
.Lfunc_end4:
	.size	_ZN9rocsolver6v33100L12subtract_tauIfPfEEviiT0_iilPT_l, .Lfunc_end4-_ZN9rocsolver6v33100L12subtract_tauIfPfEEviiT0_iilPT_l
                                        ; -- End function
	.set _ZN9rocsolver6v33100L12subtract_tauIfPfEEviiT0_iilPT_l.num_vgpr, 3
	.set _ZN9rocsolver6v33100L12subtract_tauIfPfEEviiT0_iilPT_l.num_agpr, 0
	.set _ZN9rocsolver6v33100L12subtract_tauIfPfEEviiT0_iilPT_l.numbered_sgpr, 16
	.set _ZN9rocsolver6v33100L12subtract_tauIfPfEEviiT0_iilPT_l.num_named_barrier, 0
	.set _ZN9rocsolver6v33100L12subtract_tauIfPfEEviiT0_iilPT_l.private_seg_size, 0
	.set _ZN9rocsolver6v33100L12subtract_tauIfPfEEviiT0_iilPT_l.uses_vcc, 0
	.set _ZN9rocsolver6v33100L12subtract_tauIfPfEEviiT0_iilPT_l.uses_flat_scratch, 0
	.set _ZN9rocsolver6v33100L12subtract_tauIfPfEEviiT0_iilPT_l.has_dyn_sized_stack, 0
	.set _ZN9rocsolver6v33100L12subtract_tauIfPfEEviiT0_iilPT_l.has_recursion, 0
	.set _ZN9rocsolver6v33100L12subtract_tauIfPfEEviiT0_iilPT_l.has_indirect_call, 0
	.section	.AMDGPU.csdata,"",@progbits
; Kernel info:
; codeLenInByte = 196
; TotalNumSgprs: 16
; NumVgprs: 3
; ScratchSize: 0
; MemoryBound: 0
; FloatMode: 240
; IeeeMode: 1
; LDSByteSize: 0 bytes/workgroup (compile time only)
; SGPRBlocks: 0
; VGPRBlocks: 0
; NumSGPRsForWavesPerEU: 16
; NumVGPRsForWavesPerEU: 3
; Occupancy: 16
; WaveLimiterHint : 0
; COMPUTE_PGM_RSRC2:SCRATCH_EN: 0
; COMPUTE_PGM_RSRC2:USER_SGPR: 6
; COMPUTE_PGM_RSRC2:TRAP_HANDLER: 0
; COMPUTE_PGM_RSRC2:TGID_X_EN: 1
; COMPUTE_PGM_RSRC2:TGID_Y_EN: 0
; COMPUTE_PGM_RSRC2:TGID_Z_EN: 0
; COMPUTE_PGM_RSRC2:TIDIG_COMP_CNT: 0
	.section	.text._ZN9rocsolver6v33100L6restauIfEEviPT_l,"axG",@progbits,_ZN9rocsolver6v33100L6restauIfEEviPT_l,comdat
	.globl	_ZN9rocsolver6v33100L6restauIfEEviPT_l ; -- Begin function _ZN9rocsolver6v33100L6restauIfEEviPT_l
	.p2align	8
	.type	_ZN9rocsolver6v33100L6restauIfEEviPT_l,@function
_ZN9rocsolver6v33100L6restauIfEEviPT_l: ; @_ZN9rocsolver6v33100L6restauIfEEviPT_l
; %bb.0:
	s_clause 0x1
	s_load_dword s0, s[4:5], 0x24
	s_load_dword s1, s[4:5], 0x0
	s_waitcnt lgkmcnt(0)
	s_and_b32 s0, s0, 0xffff
	v_mad_u64_u32 v[0:1], null, s6, s0, v[0:1]
	s_mov_b32 s0, exec_lo
	v_cmpx_gt_u32_e64 s1, v0
	s_cbranch_execz .LBB5_2
; %bb.1:
	s_load_dwordx4 s[0:3], s[4:5], 0x8
	v_mov_b32_e32 v1, 0
	v_lshlrev_b64 v[0:1], 2, v[0:1]
	s_waitcnt lgkmcnt(0)
	s_mul_i32 s3, s3, s7
	s_mul_hi_u32 s4, s2, s7
	s_mul_i32 s2, s2, s7
	s_add_i32 s3, s4, s3
	s_lshl_b64 s[2:3], s[2:3], 2
	s_add_u32 s0, s0, s2
	s_addc_u32 s1, s1, s3
	v_add_co_u32 v0, vcc_lo, s0, v0
	v_add_co_ci_u32_e64 v1, null, s1, v1, vcc_lo
	global_load_dword v2, v[0:1], off
	s_waitcnt vmcnt(0)
	v_xor_b32_e32 v2, 0x80000000, v2
	global_store_dword v[0:1], v2, off
.LBB5_2:
	s_endpgm
	.section	.rodata,"a",@progbits
	.p2align	6, 0x0
	.amdhsa_kernel _ZN9rocsolver6v33100L6restauIfEEviPT_l
		.amdhsa_group_segment_fixed_size 0
		.amdhsa_private_segment_fixed_size 0
		.amdhsa_kernarg_size 280
		.amdhsa_user_sgpr_count 6
		.amdhsa_user_sgpr_private_segment_buffer 1
		.amdhsa_user_sgpr_dispatch_ptr 0
		.amdhsa_user_sgpr_queue_ptr 0
		.amdhsa_user_sgpr_kernarg_segment_ptr 1
		.amdhsa_user_sgpr_dispatch_id 0
		.amdhsa_user_sgpr_flat_scratch_init 0
		.amdhsa_user_sgpr_private_segment_size 0
		.amdhsa_wavefront_size32 1
		.amdhsa_uses_dynamic_stack 0
		.amdhsa_system_sgpr_private_segment_wavefront_offset 0
		.amdhsa_system_sgpr_workgroup_id_x 1
		.amdhsa_system_sgpr_workgroup_id_y 1
		.amdhsa_system_sgpr_workgroup_id_z 0
		.amdhsa_system_sgpr_workgroup_info 0
		.amdhsa_system_vgpr_workitem_id 0
		.amdhsa_next_free_vgpr 3
		.amdhsa_next_free_sgpr 8
		.amdhsa_reserve_vcc 1
		.amdhsa_reserve_flat_scratch 0
		.amdhsa_float_round_mode_32 0
		.amdhsa_float_round_mode_16_64 0
		.amdhsa_float_denorm_mode_32 3
		.amdhsa_float_denorm_mode_16_64 3
		.amdhsa_dx10_clamp 1
		.amdhsa_ieee_mode 1
		.amdhsa_fp16_overflow 0
		.amdhsa_workgroup_processor_mode 1
		.amdhsa_memory_ordered 1
		.amdhsa_forward_progress 1
		.amdhsa_shared_vgpr_count 0
		.amdhsa_exception_fp_ieee_invalid_op 0
		.amdhsa_exception_fp_denorm_src 0
		.amdhsa_exception_fp_ieee_div_zero 0
		.amdhsa_exception_fp_ieee_overflow 0
		.amdhsa_exception_fp_ieee_underflow 0
		.amdhsa_exception_fp_ieee_inexact 0
		.amdhsa_exception_int_div_zero 0
	.end_amdhsa_kernel
	.section	.text._ZN9rocsolver6v33100L6restauIfEEviPT_l,"axG",@progbits,_ZN9rocsolver6v33100L6restauIfEEviPT_l,comdat
.Lfunc_end5:
	.size	_ZN9rocsolver6v33100L6restauIfEEviPT_l, .Lfunc_end5-_ZN9rocsolver6v33100L6restauIfEEviPT_l
                                        ; -- End function
	.set _ZN9rocsolver6v33100L6restauIfEEviPT_l.num_vgpr, 3
	.set _ZN9rocsolver6v33100L6restauIfEEviPT_l.num_agpr, 0
	.set _ZN9rocsolver6v33100L6restauIfEEviPT_l.numbered_sgpr, 8
	.set _ZN9rocsolver6v33100L6restauIfEEviPT_l.num_named_barrier, 0
	.set _ZN9rocsolver6v33100L6restauIfEEviPT_l.private_seg_size, 0
	.set _ZN9rocsolver6v33100L6restauIfEEviPT_l.uses_vcc, 1
	.set _ZN9rocsolver6v33100L6restauIfEEviPT_l.uses_flat_scratch, 0
	.set _ZN9rocsolver6v33100L6restauIfEEviPT_l.has_dyn_sized_stack, 0
	.set _ZN9rocsolver6v33100L6restauIfEEviPT_l.has_recursion, 0
	.set _ZN9rocsolver6v33100L6restauIfEEviPT_l.has_indirect_call, 0
	.section	.AMDGPU.csdata,"",@progbits
; Kernel info:
; codeLenInByte = 156
; TotalNumSgprs: 10
; NumVgprs: 3
; ScratchSize: 0
; MemoryBound: 0
; FloatMode: 240
; IeeeMode: 1
; LDSByteSize: 0 bytes/workgroup (compile time only)
; SGPRBlocks: 0
; VGPRBlocks: 0
; NumSGPRsForWavesPerEU: 10
; NumVGPRsForWavesPerEU: 3
; Occupancy: 16
; WaveLimiterHint : 0
; COMPUTE_PGM_RSRC2:SCRATCH_EN: 0
; COMPUTE_PGM_RSRC2:USER_SGPR: 6
; COMPUTE_PGM_RSRC2:TRAP_HANDLER: 0
; COMPUTE_PGM_RSRC2:TGID_X_EN: 1
; COMPUTE_PGM_RSRC2:TGID_Y_EN: 1
; COMPUTE_PGM_RSRC2:TGID_Z_EN: 0
; COMPUTE_PGM_RSRC2:TIDIG_COMP_CNT: 0
	.section	.text._ZN9rocsolver6v33100L6iota_nIdEEvPT_jS2_,"axG",@progbits,_ZN9rocsolver6v33100L6iota_nIdEEvPT_jS2_,comdat
	.globl	_ZN9rocsolver6v33100L6iota_nIdEEvPT_jS2_ ; -- Begin function _ZN9rocsolver6v33100L6iota_nIdEEvPT_jS2_
	.p2align	8
	.type	_ZN9rocsolver6v33100L6iota_nIdEEvPT_jS2_,@function
_ZN9rocsolver6v33100L6iota_nIdEEvPT_jS2_: ; @_ZN9rocsolver6v33100L6iota_nIdEEvPT_jS2_
; %bb.0:
	s_load_dword s0, s[4:5], 0x8
	s_waitcnt lgkmcnt(0)
	v_cmp_gt_u32_e32 vcc_lo, s0, v0
	s_and_saveexec_b32 s0, vcc_lo
	s_cbranch_execz .LBB6_2
; %bb.1:
	v_cvt_f64_u32_e32 v[1:2], v0
	s_load_dwordx2 s[0:1], s[4:5], 0x10
	v_lshlrev_b32_e32 v0, 3, v0
	s_waitcnt lgkmcnt(0)
	v_add_f64 v[1:2], s[0:1], v[1:2]
	s_load_dwordx2 s[0:1], s[4:5], 0x0
	s_waitcnt lgkmcnt(0)
	global_store_dwordx2 v0, v[1:2], s[0:1]
.LBB6_2:
	s_endpgm
	.section	.rodata,"a",@progbits
	.p2align	6, 0x0
	.amdhsa_kernel _ZN9rocsolver6v33100L6iota_nIdEEvPT_jS2_
		.amdhsa_group_segment_fixed_size 0
		.amdhsa_private_segment_fixed_size 0
		.amdhsa_kernarg_size 24
		.amdhsa_user_sgpr_count 6
		.amdhsa_user_sgpr_private_segment_buffer 1
		.amdhsa_user_sgpr_dispatch_ptr 0
		.amdhsa_user_sgpr_queue_ptr 0
		.amdhsa_user_sgpr_kernarg_segment_ptr 1
		.amdhsa_user_sgpr_dispatch_id 0
		.amdhsa_user_sgpr_flat_scratch_init 0
		.amdhsa_user_sgpr_private_segment_size 0
		.amdhsa_wavefront_size32 1
		.amdhsa_uses_dynamic_stack 0
		.amdhsa_system_sgpr_private_segment_wavefront_offset 0
		.amdhsa_system_sgpr_workgroup_id_x 1
		.amdhsa_system_sgpr_workgroup_id_y 0
		.amdhsa_system_sgpr_workgroup_id_z 0
		.amdhsa_system_sgpr_workgroup_info 0
		.amdhsa_system_vgpr_workitem_id 0
		.amdhsa_next_free_vgpr 3
		.amdhsa_next_free_sgpr 6
		.amdhsa_reserve_vcc 1
		.amdhsa_reserve_flat_scratch 0
		.amdhsa_float_round_mode_32 0
		.amdhsa_float_round_mode_16_64 0
		.amdhsa_float_denorm_mode_32 3
		.amdhsa_float_denorm_mode_16_64 3
		.amdhsa_dx10_clamp 1
		.amdhsa_ieee_mode 1
		.amdhsa_fp16_overflow 0
		.amdhsa_workgroup_processor_mode 1
		.amdhsa_memory_ordered 1
		.amdhsa_forward_progress 1
		.amdhsa_shared_vgpr_count 0
		.amdhsa_exception_fp_ieee_invalid_op 0
		.amdhsa_exception_fp_denorm_src 0
		.amdhsa_exception_fp_ieee_div_zero 0
		.amdhsa_exception_fp_ieee_overflow 0
		.amdhsa_exception_fp_ieee_underflow 0
		.amdhsa_exception_fp_ieee_inexact 0
		.amdhsa_exception_int_div_zero 0
	.end_amdhsa_kernel
	.section	.text._ZN9rocsolver6v33100L6iota_nIdEEvPT_jS2_,"axG",@progbits,_ZN9rocsolver6v33100L6iota_nIdEEvPT_jS2_,comdat
.Lfunc_end6:
	.size	_ZN9rocsolver6v33100L6iota_nIdEEvPT_jS2_, .Lfunc_end6-_ZN9rocsolver6v33100L6iota_nIdEEvPT_jS2_
                                        ; -- End function
	.set _ZN9rocsolver6v33100L6iota_nIdEEvPT_jS2_.num_vgpr, 3
	.set _ZN9rocsolver6v33100L6iota_nIdEEvPT_jS2_.num_agpr, 0
	.set _ZN9rocsolver6v33100L6iota_nIdEEvPT_jS2_.numbered_sgpr, 6
	.set _ZN9rocsolver6v33100L6iota_nIdEEvPT_jS2_.num_named_barrier, 0
	.set _ZN9rocsolver6v33100L6iota_nIdEEvPT_jS2_.private_seg_size, 0
	.set _ZN9rocsolver6v33100L6iota_nIdEEvPT_jS2_.uses_vcc, 1
	.set _ZN9rocsolver6v33100L6iota_nIdEEvPT_jS2_.uses_flat_scratch, 0
	.set _ZN9rocsolver6v33100L6iota_nIdEEvPT_jS2_.has_dyn_sized_stack, 0
	.set _ZN9rocsolver6v33100L6iota_nIdEEvPT_jS2_.has_recursion, 0
	.set _ZN9rocsolver6v33100L6iota_nIdEEvPT_jS2_.has_indirect_call, 0
	.section	.AMDGPU.csdata,"",@progbits
; Kernel info:
; codeLenInByte = 76
; TotalNumSgprs: 8
; NumVgprs: 3
; ScratchSize: 0
; MemoryBound: 0
; FloatMode: 240
; IeeeMode: 1
; LDSByteSize: 0 bytes/workgroup (compile time only)
; SGPRBlocks: 0
; VGPRBlocks: 0
; NumSGPRsForWavesPerEU: 8
; NumVGPRsForWavesPerEU: 3
; Occupancy: 16
; WaveLimiterHint : 0
; COMPUTE_PGM_RSRC2:SCRATCH_EN: 0
; COMPUTE_PGM_RSRC2:USER_SGPR: 6
; COMPUTE_PGM_RSRC2:TRAP_HANDLER: 0
; COMPUTE_PGM_RSRC2:TGID_X_EN: 1
; COMPUTE_PGM_RSRC2:TGID_Y_EN: 0
; COMPUTE_PGM_RSRC2:TGID_Z_EN: 0
; COMPUTE_PGM_RSRC2:TIDIG_COMP_CNT: 0
	.section	.text._ZN9rocsolver6v33100L16org2l_init_identIdPdEEviiiT0_iil,"axG",@progbits,_ZN9rocsolver6v33100L16org2l_init_identIdPdEEviiiT0_iil,comdat
	.globl	_ZN9rocsolver6v33100L16org2l_init_identIdPdEEviiiT0_iil ; -- Begin function _ZN9rocsolver6v33100L16org2l_init_identIdPdEEviiiT0_iil
	.p2align	8
	.type	_ZN9rocsolver6v33100L16org2l_init_identIdPdEEviiiT0_iil,@function
_ZN9rocsolver6v33100L16org2l_init_identIdPdEEviiiT0_iil: ; @_ZN9rocsolver6v33100L16org2l_init_identIdPdEEviiiT0_iil
; %bb.0:
	s_clause 0x1
	s_load_dword s0, s[4:5], 0x34
	s_load_dwordx4 s[12:15], s[4:5], 0x0
	s_waitcnt lgkmcnt(0)
	s_lshr_b32 s1, s0, 16
	s_and_b32 s0, s0, 0xffff
	v_mad_u64_u32 v[2:3], null, s6, s0, v[0:1]
	v_mad_u64_u32 v[0:1], null, s7, s1, v[1:2]
	v_cmp_gt_u32_e32 vcc_lo, s12, v2
	v_cmp_gt_u32_e64 s0, s13, v0
	s_and_b32 s0, vcc_lo, s0
	s_and_saveexec_b32 s1, s0
	s_cbranch_execz .LBB7_5
; %bb.1:
	s_sub_i32 s0, s12, s13
	v_mov_b32_e32 v3, 0
	v_add_nc_u32_e32 v1, s0, v0
	v_mov_b32_e32 v4, 0x3ff00000
	s_mov_b32 s2, exec_lo
	v_cmp_eq_u32_e64 s1, v2, v1
	v_cmpx_ne_u32_e64 v2, v1
; %bb.2:
	s_sub_i32 s0, s13, s14
	v_cmp_gt_u32_e32 vcc_lo, v2, v1
	v_cmp_gt_u32_e64 s0, s0, v0
	v_mov_b32_e32 v3, 0
	v_mov_b32_e32 v4, 0
	s_andn2_b32 s1, s1, exec_lo
	s_or_b32 s0, vcc_lo, s0
	s_and_b32 s0, s0, exec_lo
	s_or_b32 s1, s1, s0
; %bb.3:
	s_or_b32 exec_lo, exec_lo, s2
	s_and_b32 exec_lo, exec_lo, s1
	s_cbranch_execz .LBB7_5
; %bb.4:
	s_clause 0x1
	s_load_dwordx4 s[0:3], s[4:5], 0x10
	s_load_dwordx2 s[4:5], s[4:5], 0x20
	s_waitcnt lgkmcnt(0)
	v_mad_u64_u32 v[0:1], null, v0, s3, v[2:3]
	s_mul_i32 s5, s5, s8
	s_mul_hi_u32 s6, s4, s8
	v_mov_b32_e32 v1, 0
	s_mul_i32 s4, s4, s8
	s_add_i32 s5, s6, s5
	s_ashr_i32 s7, s2, 31
	s_lshl_b64 s[4:5], s[4:5], 3
	s_mov_b32 s6, s2
	v_lshlrev_b64 v[0:1], 3, v[0:1]
	s_add_u32 s2, s0, s4
	s_addc_u32 s3, s1, s5
	s_lshl_b64 s[0:1], s[6:7], 3
	s_add_u32 s0, s2, s0
	s_addc_u32 s1, s3, s1
	v_add_co_u32 v0, vcc_lo, s0, v0
	v_add_co_ci_u32_e64 v1, null, s1, v1, vcc_lo
	global_store_dwordx2 v[0:1], v[3:4], off
.LBB7_5:
	s_endpgm
	.section	.rodata,"a",@progbits
	.p2align	6, 0x0
	.amdhsa_kernel _ZN9rocsolver6v33100L16org2l_init_identIdPdEEviiiT0_iil
		.amdhsa_group_segment_fixed_size 0
		.amdhsa_private_segment_fixed_size 0
		.amdhsa_kernarg_size 296
		.amdhsa_user_sgpr_count 6
		.amdhsa_user_sgpr_private_segment_buffer 1
		.amdhsa_user_sgpr_dispatch_ptr 0
		.amdhsa_user_sgpr_queue_ptr 0
		.amdhsa_user_sgpr_kernarg_segment_ptr 1
		.amdhsa_user_sgpr_dispatch_id 0
		.amdhsa_user_sgpr_flat_scratch_init 0
		.amdhsa_user_sgpr_private_segment_size 0
		.amdhsa_wavefront_size32 1
		.amdhsa_uses_dynamic_stack 0
		.amdhsa_system_sgpr_private_segment_wavefront_offset 0
		.amdhsa_system_sgpr_workgroup_id_x 1
		.amdhsa_system_sgpr_workgroup_id_y 1
		.amdhsa_system_sgpr_workgroup_id_z 1
		.amdhsa_system_sgpr_workgroup_info 0
		.amdhsa_system_vgpr_workitem_id 1
		.amdhsa_next_free_vgpr 5
		.amdhsa_next_free_sgpr 16
		.amdhsa_reserve_vcc 1
		.amdhsa_reserve_flat_scratch 0
		.amdhsa_float_round_mode_32 0
		.amdhsa_float_round_mode_16_64 0
		.amdhsa_float_denorm_mode_32 3
		.amdhsa_float_denorm_mode_16_64 3
		.amdhsa_dx10_clamp 1
		.amdhsa_ieee_mode 1
		.amdhsa_fp16_overflow 0
		.amdhsa_workgroup_processor_mode 1
		.amdhsa_memory_ordered 1
		.amdhsa_forward_progress 1
		.amdhsa_shared_vgpr_count 0
		.amdhsa_exception_fp_ieee_invalid_op 0
		.amdhsa_exception_fp_denorm_src 0
		.amdhsa_exception_fp_ieee_div_zero 0
		.amdhsa_exception_fp_ieee_overflow 0
		.amdhsa_exception_fp_ieee_underflow 0
		.amdhsa_exception_fp_ieee_inexact 0
		.amdhsa_exception_int_div_zero 0
	.end_amdhsa_kernel
	.section	.text._ZN9rocsolver6v33100L16org2l_init_identIdPdEEviiiT0_iil,"axG",@progbits,_ZN9rocsolver6v33100L16org2l_init_identIdPdEEviiiT0_iil,comdat
.Lfunc_end7:
	.size	_ZN9rocsolver6v33100L16org2l_init_identIdPdEEviiiT0_iil, .Lfunc_end7-_ZN9rocsolver6v33100L16org2l_init_identIdPdEEviiiT0_iil
                                        ; -- End function
	.set _ZN9rocsolver6v33100L16org2l_init_identIdPdEEviiiT0_iil.num_vgpr, 5
	.set _ZN9rocsolver6v33100L16org2l_init_identIdPdEEviiiT0_iil.num_agpr, 0
	.set _ZN9rocsolver6v33100L16org2l_init_identIdPdEEviiiT0_iil.numbered_sgpr, 16
	.set _ZN9rocsolver6v33100L16org2l_init_identIdPdEEviiiT0_iil.num_named_barrier, 0
	.set _ZN9rocsolver6v33100L16org2l_init_identIdPdEEviiiT0_iil.private_seg_size, 0
	.set _ZN9rocsolver6v33100L16org2l_init_identIdPdEEviiiT0_iil.uses_vcc, 1
	.set _ZN9rocsolver6v33100L16org2l_init_identIdPdEEviiiT0_iil.uses_flat_scratch, 0
	.set _ZN9rocsolver6v33100L16org2l_init_identIdPdEEviiiT0_iil.has_dyn_sized_stack, 0
	.set _ZN9rocsolver6v33100L16org2l_init_identIdPdEEviiiT0_iil.has_recursion, 0
	.set _ZN9rocsolver6v33100L16org2l_init_identIdPdEEviiiT0_iil.has_indirect_call, 0
	.section	.AMDGPU.csdata,"",@progbits
; Kernel info:
; codeLenInByte = 288
; TotalNumSgprs: 18
; NumVgprs: 5
; ScratchSize: 0
; MemoryBound: 0
; FloatMode: 240
; IeeeMode: 1
; LDSByteSize: 0 bytes/workgroup (compile time only)
; SGPRBlocks: 0
; VGPRBlocks: 0
; NumSGPRsForWavesPerEU: 18
; NumVGPRsForWavesPerEU: 5
; Occupancy: 16
; WaveLimiterHint : 0
; COMPUTE_PGM_RSRC2:SCRATCH_EN: 0
; COMPUTE_PGM_RSRC2:USER_SGPR: 6
; COMPUTE_PGM_RSRC2:TRAP_HANDLER: 0
; COMPUTE_PGM_RSRC2:TGID_X_EN: 1
; COMPUTE_PGM_RSRC2:TGID_Y_EN: 1
; COMPUTE_PGM_RSRC2:TGID_Z_EN: 1
; COMPUTE_PGM_RSRC2:TIDIG_COMP_CNT: 1
	.section	.text._ZN9rocsolver6v33100L16larf_left_kernelILi1024EdiPdEEvT1_S3_T2_lS3_lPKT0_lS4_lS3_l,"axG",@progbits,_ZN9rocsolver6v33100L16larf_left_kernelILi1024EdiPdEEvT1_S3_T2_lS3_lPKT0_lS4_lS3_l,comdat
	.globl	_ZN9rocsolver6v33100L16larf_left_kernelILi1024EdiPdEEvT1_S3_T2_lS3_lPKT0_lS4_lS3_l ; -- Begin function _ZN9rocsolver6v33100L16larf_left_kernelILi1024EdiPdEEvT1_S3_T2_lS3_lPKT0_lS4_lS3_l
	.p2align	8
	.type	_ZN9rocsolver6v33100L16larf_left_kernelILi1024EdiPdEEvT1_S3_T2_lS3_lPKT0_lS4_lS3_l,@function
_ZN9rocsolver6v33100L16larf_left_kernelILi1024EdiPdEEvT1_S3_T2_lS3_lPKT0_lS4_lS3_l: ; @_ZN9rocsolver6v33100L16larf_left_kernelILi1024EdiPdEEvT1_S3_T2_lS3_lPKT0_lS4_lS3_l
; %bb.0:
	s_clause 0x4
	s_load_dword s9, s[4:5], 0x0
	s_load_dwordx2 s[0:1], s[4:5], 0x50
	s_load_dword s2, s[4:5], 0x48
	s_load_dwordx2 s[10:11], s[4:5], 0x40
	s_load_dwordx8 s[12:19], s[4:5], 0x20
	v_mov_b32_e32 v1, 0
	v_mov_b32_e32 v2, 0
	v_lshlrev_b32_e32 v5, 3, v0
	s_ashr_i32 s25, s8, 31
	s_waitcnt lgkmcnt(0)
	v_cmp_gt_i32_e32 vcc_lo, s9, v0
	s_mul_i32 s22, s0, s25
	s_mul_hi_u32 s24, s0, s8
	s_mul_i32 s23, s1, s8
	s_mul_i32 s6, s0, s8
	s_mul_hi_i32 s21, s7, s2
	s_mul_i32 s20, s7, s2
	s_and_saveexec_b32 s26, vcc_lo
	s_cbranch_execz .LBB8_6
; %bb.1:
	s_clause 0x1
	s_load_dword s28, s[4:5], 0x18
	s_load_dwordx4 s[0:3], s[4:5], 0x8
	s_sub_i32 s5, 1, s9
	s_mul_i32 s7, s12, s25
	s_mul_hi_u32 s30, s12, s8
	s_mul_i32 s4, s12, s8
	s_mul_i32 s31, s13, s8
	v_add3_u32 v6, v5, 0, 0x100
	v_mov_b32_e32 v4, v0
	v_mov_b32_e32 v3, v6
	s_waitcnt lgkmcnt(0)
	s_ashr_i32 s29, s28, 31
	v_mad_i64_i32 v[1:2], null, s28, v0, 0
	v_cmp_lt_i64_e64 s27, s[28:29], 1
	s_mul_i32 s5, s28, s5
	s_and_b32 s12, s27, exec_lo
	s_cselect_b32 s12, s5, 0
	s_add_i32 s5, s30, s7
	s_ashr_i32 s13, s12, 31
	s_add_i32 s5, s5, s31
	s_lshl_b64 s[12:13], s[12:13], 3
	s_lshl_b64 s[2:3], s[2:3], 3
	;; [unrolled: 1-line block ×3, first 2 shown]
	v_lshlrev_b64 v[1:2], 3, v[1:2]
	s_add_u32 s0, s0, s12
	s_addc_u32 s1, s1, s13
	s_add_u32 s0, s0, s2
	s_addc_u32 s1, s1, s3
	;; [unrolled: 2-line block ×3, first 2 shown]
	v_add_co_u32 v1, s0, s0, v1
	v_add_co_ci_u32_e64 v2, null, s1, v2, s0
	s_mov_b32 s4, 0
	s_lshl_b64 s[2:3], s[28:29], 13
	.p2align	6
.LBB8_2:                                ; =>This Inner Loop Header: Depth=1
	global_load_dwordx2 v[7:8], v[1:2], off
	v_add_nc_u32_e32 v4, 0x400, v4
	v_add_co_u32 v1, s0, v1, s2
	v_add_co_ci_u32_e64 v2, null, s3, v2, s0
	v_cmp_le_i32_e64 s1, s9, v4
	s_or_b32 s4, s1, s4
	s_waitcnt vmcnt(0)
	ds_write_b64 v3, v[7:8]
	v_add_nc_u32_e32 v3, 0x2000, v3
	s_andn2_b32 exec_lo, exec_lo, s4
	s_cbranch_execnz .LBB8_2
; %bb.3:
	s_or_b32 exec_lo, exec_lo, s4
	s_add_i32 s0, s24, s22
	v_lshlrev_b32_e32 v1, 3, v0
	s_add_i32 s7, s0, s23
	s_lshl_b64 s[0:1], s[20:21], 3
	s_lshl_b64 s[2:3], s[6:7], 3
	v_mov_b32_e32 v7, v0
	s_add_u32 s2, s2, s0
	s_addc_u32 s3, s3, s1
	s_lshl_b64 s[0:1], s[10:11], 3
	s_add_u32 s0, s2, s0
	s_addc_u32 s1, s3, s1
	s_add_u32 s0, s18, s0
	s_addc_u32 s1, s19, s1
	v_add_co_u32 v3, s0, s0, v1
	v_mov_b32_e32 v1, 0
	v_add_co_ci_u32_e64 v4, null, s1, 0, s0
	v_mov_b32_e32 v2, 0
	s_mov_b32 s2, 0
	.p2align	6
.LBB8_4:                                ; =>This Inner Loop Header: Depth=1
	global_load_dwordx2 v[8:9], v[3:4], off
	ds_read_b64 v[10:11], v6
	v_add_nc_u32_e32 v7, 0x400, v7
	v_add_co_u32 v3, s1, 0x2000, v3
	v_add_nc_u32_e32 v6, 0x2000, v6
	v_add_co_ci_u32_e64 v4, null, 0, v4, s1
	v_cmp_le_i32_e64 s0, s9, v7
	s_or_b32 s2, s0, s2
	s_waitcnt vmcnt(0) lgkmcnt(0)
	v_fma_f64 v[1:2], v[8:9], v[10:11], v[1:2]
	s_andn2_b32 exec_lo, exec_lo, s2
	s_cbranch_execnz .LBB8_4
; %bb.5:
	s_or_b32 exec_lo, exec_lo, s2
.LBB8_6:
	s_or_b32 exec_lo, exec_lo, s26
	v_mbcnt_lo_u32_b32 v6, -1, 0
	s_mov_b32 s1, exec_lo
	v_cmp_ne_u32_e64 s0, 31, v6
	v_add_co_ci_u32_e64 v3, null, 0, v6, s0
	v_cmp_gt_u32_e64 s0, 30, v6
	v_lshlrev_b32_e32 v4, 2, v3
	ds_bpermute_b32 v3, v4, v1
	ds_bpermute_b32 v4, v4, v2
	s_waitcnt lgkmcnt(0)
	v_add_f64 v[1:2], v[1:2], v[3:4]
	v_cndmask_b32_e64 v3, 0, 2, s0
	v_cmp_gt_u32_e64 s0, 28, v6
	v_add_lshl_u32 v4, v3, v6, 2
	ds_bpermute_b32 v3, v4, v1
	ds_bpermute_b32 v4, v4, v2
	s_waitcnt lgkmcnt(0)
	v_add_f64 v[1:2], v[1:2], v[3:4]
	v_cndmask_b32_e64 v3, 0, 4, s0
	v_cmp_gt_u32_e64 s0, 24, v6
	v_add_lshl_u32 v4, v3, v6, 2
	ds_bpermute_b32 v3, v4, v1
	ds_bpermute_b32 v4, v4, v2
	s_waitcnt lgkmcnt(0)
	v_add_f64 v[1:2], v[1:2], v[3:4]
	v_cndmask_b32_e64 v3, 0, 8, s0
	v_add_lshl_u32 v4, v3, v6, 2
	ds_bpermute_b32 v3, v4, v1
	ds_bpermute_b32 v4, v4, v2
	s_waitcnt lgkmcnt(0)
	v_add_f64 v[1:2], v[1:2], v[3:4]
	v_lshl_or_b32 v4, v6, 2, 64
	ds_bpermute_b32 v3, v4, v1
	ds_bpermute_b32 v4, v4, v2
	s_waitcnt lgkmcnt(0)
	v_add_f64 v[1:2], v[1:2], v[3:4]
	v_and_b32_e32 v3, 31, v0
	v_cmpx_eq_u32_e32 0, v3
; %bb.7:
	v_lshrrev_b32_e32 v3, 2, v0
	v_add_nc_u32_e32 v3, 0, v3
	ds_write_b64 v3, v[1:2]
; %bb.8:
	s_or_b32 exec_lo, exec_lo, s1
	s_mov_b32 s1, exec_lo
	s_waitcnt lgkmcnt(0)
	s_barrier
	buffer_gl0_inv
	v_cmpx_eq_u32_e32 0, v0
	s_cbranch_execz .LBB8_10
; %bb.9:
	v_mov_b32_e32 v14, 0
	ds_read2_b64 v[6:9], v14 offset0:1 offset1:2
	ds_read2_b64 v[10:13], v14 offset0:3 offset1:4
	s_waitcnt lgkmcnt(1)
	v_add_f64 v[1:2], v[1:2], v[6:7]
	v_add_f64 v[1:2], v[1:2], v[8:9]
	s_waitcnt lgkmcnt(0)
	v_add_f64 v[1:2], v[1:2], v[10:11]
	v_add_f64 v[10:11], v[1:2], v[12:13]
	ds_read2_b64 v[1:4], v14 offset0:5 offset1:6
	ds_read2_b64 v[6:9], v14 offset0:7 offset1:8
	s_waitcnt lgkmcnt(1)
	v_add_f64 v[1:2], v[10:11], v[1:2]
	v_add_f64 v[1:2], v[1:2], v[3:4]
	s_waitcnt lgkmcnt(0)
	v_add_f64 v[1:2], v[1:2], v[6:7]
	v_add_f64 v[10:11], v[1:2], v[8:9]
	;; [unrolled: 8-line block ×7, first 2 shown]
	ds_read2_b64 v[1:4], v14 offset0:29 offset1:30
	ds_read_b64 v[8:9], v14 offset:248
	s_waitcnt lgkmcnt(1)
	v_add_f64 v[1:2], v[6:7], v[1:2]
	v_add_f64 v[1:2], v[1:2], v[3:4]
	s_waitcnt lgkmcnt(0)
	v_add_f64 v[1:2], v[1:2], v[8:9]
	ds_write_b64 v14, v[1:2]
.LBB8_10:
	s_or_b32 exec_lo, exec_lo, s1
	s_waitcnt lgkmcnt(0)
	s_barrier
	buffer_gl0_inv
	s_and_saveexec_b32 s0, vcc_lo
	s_cbranch_execz .LBB8_13
; %bb.11:
	s_mul_i32 s0, s16, s25
	s_mul_hi_u32 s1, s16, s8
	s_mul_i32 s2, s17, s8
	s_add_i32 s1, s1, s0
	s_mul_i32 s0, s16, s8
	s_add_i32 s1, s1, s2
	v_mov_b32_e32 v1, 0
	s_lshl_b64 s[0:1], s[0:1], 3
	v_add3_u32 v6, v5, 0, 0x100
	s_add_u32 s0, s14, s0
	s_addc_u32 s1, s15, s1
	ds_read_b64 v[1:2], v1
	s_load_dwordx2 s[0:1], s[0:1], 0x0
	s_add_i32 s2, s24, s22
	s_add_i32 s7, s2, s23
	s_lshl_b64 s[2:3], s[20:21], 3
	s_waitcnt lgkmcnt(0)
	v_mul_f64 v[1:2], v[1:2], -s[0:1]
	s_lshl_b64 s[0:1], s[6:7], 3
	s_add_u32 s2, s0, s2
	s_addc_u32 s3, s1, s3
	s_lshl_b64 s[0:1], s[10:11], 3
	s_add_u32 s0, s2, s0
	s_addc_u32 s1, s3, s1
	s_add_u32 s0, s18, s0
	s_addc_u32 s1, s19, s1
	v_add_co_u32 v3, s0, s0, v5
	v_add_co_ci_u32_e64 v4, null, s1, 0, s0
	s_mov_b32 s1, 0
	.p2align	6
.LBB8_12:                               ; =>This Inner Loop Header: Depth=1
	global_load_dwordx2 v[7:8], v[3:4], off
	ds_read_b64 v[9:10], v6
	v_add_nc_u32_e32 v0, 0x400, v0
	v_add_nc_u32_e32 v6, 0x2000, v6
	v_cmp_le_i32_e32 vcc_lo, s9, v0
	s_or_b32 s1, vcc_lo, s1
	s_waitcnt vmcnt(0) lgkmcnt(0)
	v_fma_f64 v[7:8], v[1:2], v[9:10], v[7:8]
	global_store_dwordx2 v[3:4], v[7:8], off
	v_add_co_u32 v3, s0, 0x2000, v3
	v_add_co_ci_u32_e64 v4, null, 0, v4, s0
	s_andn2_b32 exec_lo, exec_lo, s1
	s_cbranch_execnz .LBB8_12
.LBB8_13:
	s_endpgm
	.section	.rodata,"a",@progbits
	.p2align	6, 0x0
	.amdhsa_kernel _ZN9rocsolver6v33100L16larf_left_kernelILi1024EdiPdEEvT1_S3_T2_lS3_lPKT0_lS4_lS3_l
		.amdhsa_group_segment_fixed_size 0
		.amdhsa_private_segment_fixed_size 0
		.amdhsa_kernarg_size 88
		.amdhsa_user_sgpr_count 6
		.amdhsa_user_sgpr_private_segment_buffer 1
		.amdhsa_user_sgpr_dispatch_ptr 0
		.amdhsa_user_sgpr_queue_ptr 0
		.amdhsa_user_sgpr_kernarg_segment_ptr 1
		.amdhsa_user_sgpr_dispatch_id 0
		.amdhsa_user_sgpr_flat_scratch_init 0
		.amdhsa_user_sgpr_private_segment_size 0
		.amdhsa_wavefront_size32 1
		.amdhsa_uses_dynamic_stack 0
		.amdhsa_system_sgpr_private_segment_wavefront_offset 0
		.amdhsa_system_sgpr_workgroup_id_x 1
		.amdhsa_system_sgpr_workgroup_id_y 1
		.amdhsa_system_sgpr_workgroup_id_z 1
		.amdhsa_system_sgpr_workgroup_info 0
		.amdhsa_system_vgpr_workitem_id 0
		.amdhsa_next_free_vgpr 15
		.amdhsa_next_free_sgpr 32
		.amdhsa_reserve_vcc 1
		.amdhsa_reserve_flat_scratch 0
		.amdhsa_float_round_mode_32 0
		.amdhsa_float_round_mode_16_64 0
		.amdhsa_float_denorm_mode_32 3
		.amdhsa_float_denorm_mode_16_64 3
		.amdhsa_dx10_clamp 1
		.amdhsa_ieee_mode 1
		.amdhsa_fp16_overflow 0
		.amdhsa_workgroup_processor_mode 1
		.amdhsa_memory_ordered 1
		.amdhsa_forward_progress 1
		.amdhsa_shared_vgpr_count 0
		.amdhsa_exception_fp_ieee_invalid_op 0
		.amdhsa_exception_fp_denorm_src 0
		.amdhsa_exception_fp_ieee_div_zero 0
		.amdhsa_exception_fp_ieee_overflow 0
		.amdhsa_exception_fp_ieee_underflow 0
		.amdhsa_exception_fp_ieee_inexact 0
		.amdhsa_exception_int_div_zero 0
	.end_amdhsa_kernel
	.section	.text._ZN9rocsolver6v33100L16larf_left_kernelILi1024EdiPdEEvT1_S3_T2_lS3_lPKT0_lS4_lS3_l,"axG",@progbits,_ZN9rocsolver6v33100L16larf_left_kernelILi1024EdiPdEEvT1_S3_T2_lS3_lPKT0_lS4_lS3_l,comdat
.Lfunc_end8:
	.size	_ZN9rocsolver6v33100L16larf_left_kernelILi1024EdiPdEEvT1_S3_T2_lS3_lPKT0_lS4_lS3_l, .Lfunc_end8-_ZN9rocsolver6v33100L16larf_left_kernelILi1024EdiPdEEvT1_S3_T2_lS3_lPKT0_lS4_lS3_l
                                        ; -- End function
	.set _ZN9rocsolver6v33100L16larf_left_kernelILi1024EdiPdEEvT1_S3_T2_lS3_lPKT0_lS4_lS3_l.num_vgpr, 15
	.set _ZN9rocsolver6v33100L16larf_left_kernelILi1024EdiPdEEvT1_S3_T2_lS3_lPKT0_lS4_lS3_l.num_agpr, 0
	.set _ZN9rocsolver6v33100L16larf_left_kernelILi1024EdiPdEEvT1_S3_T2_lS3_lPKT0_lS4_lS3_l.numbered_sgpr, 32
	.set _ZN9rocsolver6v33100L16larf_left_kernelILi1024EdiPdEEvT1_S3_T2_lS3_lPKT0_lS4_lS3_l.num_named_barrier, 0
	.set _ZN9rocsolver6v33100L16larf_left_kernelILi1024EdiPdEEvT1_S3_T2_lS3_lPKT0_lS4_lS3_l.private_seg_size, 0
	.set _ZN9rocsolver6v33100L16larf_left_kernelILi1024EdiPdEEvT1_S3_T2_lS3_lPKT0_lS4_lS3_l.uses_vcc, 1
	.set _ZN9rocsolver6v33100L16larf_left_kernelILi1024EdiPdEEvT1_S3_T2_lS3_lPKT0_lS4_lS3_l.uses_flat_scratch, 0
	.set _ZN9rocsolver6v33100L16larf_left_kernelILi1024EdiPdEEvT1_S3_T2_lS3_lPKT0_lS4_lS3_l.has_dyn_sized_stack, 0
	.set _ZN9rocsolver6v33100L16larf_left_kernelILi1024EdiPdEEvT1_S3_T2_lS3_lPKT0_lS4_lS3_l.has_recursion, 0
	.set _ZN9rocsolver6v33100L16larf_left_kernelILi1024EdiPdEEvT1_S3_T2_lS3_lPKT0_lS4_lS3_l.has_indirect_call, 0
	.section	.AMDGPU.csdata,"",@progbits
; Kernel info:
; codeLenInByte = 1628
; TotalNumSgprs: 34
; NumVgprs: 15
; ScratchSize: 0
; MemoryBound: 0
; FloatMode: 240
; IeeeMode: 1
; LDSByteSize: 0 bytes/workgroup (compile time only)
; SGPRBlocks: 0
; VGPRBlocks: 1
; NumSGPRsForWavesPerEU: 34
; NumVGPRsForWavesPerEU: 15
; Occupancy: 16
; WaveLimiterHint : 0
; COMPUTE_PGM_RSRC2:SCRATCH_EN: 0
; COMPUTE_PGM_RSRC2:USER_SGPR: 6
; COMPUTE_PGM_RSRC2:TRAP_HANDLER: 0
; COMPUTE_PGM_RSRC2:TGID_X_EN: 1
; COMPUTE_PGM_RSRC2:TGID_Y_EN: 1
; COMPUTE_PGM_RSRC2:TGID_Z_EN: 1
; COMPUTE_PGM_RSRC2:TIDIG_COMP_CNT: 0
	.section	.text._ZN9rocsolver6v33100L17larf_right_kernelILi1024EdiPdEEvT1_S3_T2_lS3_lPKT0_lS4_lS3_l,"axG",@progbits,_ZN9rocsolver6v33100L17larf_right_kernelILi1024EdiPdEEvT1_S3_T2_lS3_lPKT0_lS4_lS3_l,comdat
	.globl	_ZN9rocsolver6v33100L17larf_right_kernelILi1024EdiPdEEvT1_S3_T2_lS3_lPKT0_lS4_lS3_l ; -- Begin function _ZN9rocsolver6v33100L17larf_right_kernelILi1024EdiPdEEvT1_S3_T2_lS3_lPKT0_lS4_lS3_l
	.p2align	8
	.type	_ZN9rocsolver6v33100L17larf_right_kernelILi1024EdiPdEEvT1_S3_T2_lS3_lPKT0_lS4_lS3_l,@function
_ZN9rocsolver6v33100L17larf_right_kernelILi1024EdiPdEEvT1_S3_T2_lS3_lPKT0_lS4_lS3_l: ; @_ZN9rocsolver6v33100L17larf_right_kernelILi1024EdiPdEEvT1_S3_T2_lS3_lPKT0_lS4_lS3_l
; %bb.0:
	s_clause 0x4
	s_load_dword s9, s[4:5], 0x4
	s_load_dwordx2 s[0:1], s[4:5], 0x50
	s_load_dwordx2 s[20:21], s[4:5], 0x40
	s_load_dword s6, s[4:5], 0x48
	s_load_dwordx8 s[12:19], s[4:5], 0x20
	v_mov_b32_e32 v1, 0
	v_mov_b32_e32 v2, 0
	v_lshlrev_b32_e32 v5, 3, v0
	s_ashr_i32 s27, s8, 31
	s_mov_b32 s10, s7
	s_ashr_i32 s11, s7, 31
	s_waitcnt lgkmcnt(0)
	v_cmp_gt_i32_e32 vcc_lo, s9, v0
	s_mul_i32 s24, s0, s27
	s_mul_hi_u32 s26, s0, s8
	s_mul_i32 s25, s1, s8
	s_mul_i32 s22, s0, s8
	s_and_saveexec_b32 s28, vcc_lo
	s_cbranch_execz .LBB9_6
; %bb.1:
	s_clause 0x1
	s_load_dword s30, s[4:5], 0x18
	s_load_dwordx4 s[0:3], s[4:5], 0x8
	s_sub_i32 s5, 1, s9
	s_mul_i32 s7, s12, s27
	s_mul_hi_u32 s29, s12, s8
	s_mul_i32 s4, s12, s8
	s_mul_i32 s33, s13, s8
	v_add3_u32 v6, v5, 0, 0x100
	v_mov_b32_e32 v4, v0
	v_mov_b32_e32 v3, v6
	s_waitcnt lgkmcnt(0)
	s_ashr_i32 s31, s30, 31
	v_mad_i64_i32 v[1:2], null, s30, v0, 0
	v_cmp_lt_i64_e64 s23, s[30:31], 1
	s_mul_i32 s5, s30, s5
	s_and_b32 s12, s23, exec_lo
	s_cselect_b32 s12, s5, 0
	s_add_i32 s5, s29, s7
	s_ashr_i32 s13, s12, 31
	s_add_i32 s5, s5, s33
	s_lshl_b64 s[12:13], s[12:13], 3
	s_lshl_b64 s[2:3], s[2:3], 3
	;; [unrolled: 1-line block ×3, first 2 shown]
	v_lshlrev_b64 v[1:2], 3, v[1:2]
	s_add_u32 s0, s0, s12
	s_addc_u32 s1, s1, s13
	s_add_u32 s0, s0, s2
	s_addc_u32 s1, s1, s3
	;; [unrolled: 2-line block ×3, first 2 shown]
	v_add_co_u32 v1, s0, s0, v1
	v_add_co_ci_u32_e64 v2, null, s1, v2, s0
	s_mov_b32 s4, 0
	s_lshl_b64 s[2:3], s[30:31], 13
	.p2align	6
.LBB9_2:                                ; =>This Inner Loop Header: Depth=1
	global_load_dwordx2 v[7:8], v[1:2], off
	v_add_nc_u32_e32 v4, 0x400, v4
	v_add_co_u32 v1, s0, v1, s2
	v_add_co_ci_u32_e64 v2, null, s3, v2, s0
	v_cmp_le_i32_e64 s1, s9, v4
	s_or_b32 s4, s1, s4
	s_waitcnt vmcnt(0)
	ds_write_b64 v3, v[7:8]
	v_add_nc_u32_e32 v3, 0x2000, v3
	s_andn2_b32 exec_lo, exec_lo, s4
	s_cbranch_execnz .LBB9_2
; %bb.3:
	s_or_b32 exec_lo, exec_lo, s4
	v_mad_i64_i32 v[1:2], null, s6, v0, 0
	s_add_i32 s2, s26, s24
	s_ashr_i32 s7, s6, 31
	s_add_i32 s23, s2, s25
	s_lshl_b64 s[2:3], s[10:11], 3
	s_lshl_b64 s[0:1], s[20:21], 3
	;; [unrolled: 1-line block ×3, first 2 shown]
	v_lshlrev_b64 v[1:2], 3, v[1:2]
	s_add_u32 s2, s18, s2
	s_addc_u32 s3, s19, s3
	s_add_u32 s0, s2, s0
	s_addc_u32 s1, s3, s1
	;; [unrolled: 2-line block ×3, first 2 shown]
	v_add_co_u32 v3, s0, s0, v1
	v_add_co_ci_u32_e64 v4, null, s1, v2, s0
	v_mov_b32_e32 v1, 0
	v_mov_b32_e32 v2, 0
	v_mov_b32_e32 v7, v0
	s_lshl_b64 s[2:3], s[6:7], 13
	s_mov_b32 s4, 0
	.p2align	6
.LBB9_4:                                ; =>This Inner Loop Header: Depth=1
	global_load_dwordx2 v[8:9], v[3:4], off
	ds_read_b64 v[10:11], v6
	v_add_nc_u32_e32 v7, 0x400, v7
	v_add_co_u32 v3, s1, v3, s2
	v_add_nc_u32_e32 v6, 0x2000, v6
	v_add_co_ci_u32_e64 v4, null, s3, v4, s1
	v_cmp_le_i32_e64 s0, s9, v7
	s_or_b32 s4, s0, s4
	s_waitcnt vmcnt(0) lgkmcnt(0)
	v_fma_f64 v[1:2], v[8:9], v[10:11], v[1:2]
	s_andn2_b32 exec_lo, exec_lo, s4
	s_cbranch_execnz .LBB9_4
; %bb.5:
	s_or_b32 exec_lo, exec_lo, s4
.LBB9_6:
	s_or_b32 exec_lo, exec_lo, s28
	v_mbcnt_lo_u32_b32 v6, -1, 0
	s_mov_b32 s1, exec_lo
	v_cmp_ne_u32_e64 s0, 31, v6
	v_add_co_ci_u32_e64 v3, null, 0, v6, s0
	v_cmp_gt_u32_e64 s0, 30, v6
	v_lshlrev_b32_e32 v4, 2, v3
	ds_bpermute_b32 v3, v4, v1
	ds_bpermute_b32 v4, v4, v2
	s_waitcnt lgkmcnt(0)
	v_add_f64 v[1:2], v[1:2], v[3:4]
	v_cndmask_b32_e64 v3, 0, 2, s0
	v_cmp_gt_u32_e64 s0, 28, v6
	v_add_lshl_u32 v4, v3, v6, 2
	ds_bpermute_b32 v3, v4, v1
	ds_bpermute_b32 v4, v4, v2
	s_waitcnt lgkmcnt(0)
	v_add_f64 v[1:2], v[1:2], v[3:4]
	v_cndmask_b32_e64 v3, 0, 4, s0
	v_cmp_gt_u32_e64 s0, 24, v6
	v_add_lshl_u32 v4, v3, v6, 2
	ds_bpermute_b32 v3, v4, v1
	ds_bpermute_b32 v4, v4, v2
	s_waitcnt lgkmcnt(0)
	v_add_f64 v[1:2], v[1:2], v[3:4]
	v_cndmask_b32_e64 v3, 0, 8, s0
	v_add_lshl_u32 v4, v3, v6, 2
	ds_bpermute_b32 v3, v4, v1
	ds_bpermute_b32 v4, v4, v2
	s_waitcnt lgkmcnt(0)
	v_add_f64 v[1:2], v[1:2], v[3:4]
	v_lshl_or_b32 v4, v6, 2, 64
	ds_bpermute_b32 v3, v4, v1
	ds_bpermute_b32 v4, v4, v2
	s_waitcnt lgkmcnt(0)
	v_add_f64 v[1:2], v[1:2], v[3:4]
	v_and_b32_e32 v3, 31, v0
	v_cmpx_eq_u32_e32 0, v3
; %bb.7:
	v_lshrrev_b32_e32 v3, 2, v0
	v_add_nc_u32_e32 v3, 0, v3
	ds_write_b64 v3, v[1:2]
; %bb.8:
	s_or_b32 exec_lo, exec_lo, s1
	s_mov_b32 s1, exec_lo
	s_waitcnt lgkmcnt(0)
	s_barrier
	buffer_gl0_inv
	v_cmpx_eq_u32_e32 0, v0
	s_cbranch_execz .LBB9_10
; %bb.9:
	v_mov_b32_e32 v14, 0
	ds_read2_b64 v[6:9], v14 offset0:1 offset1:2
	ds_read2_b64 v[10:13], v14 offset0:3 offset1:4
	s_waitcnt lgkmcnt(1)
	v_add_f64 v[1:2], v[1:2], v[6:7]
	v_add_f64 v[1:2], v[1:2], v[8:9]
	s_waitcnt lgkmcnt(0)
	v_add_f64 v[1:2], v[1:2], v[10:11]
	v_add_f64 v[10:11], v[1:2], v[12:13]
	ds_read2_b64 v[1:4], v14 offset0:5 offset1:6
	ds_read2_b64 v[6:9], v14 offset0:7 offset1:8
	s_waitcnt lgkmcnt(1)
	v_add_f64 v[1:2], v[10:11], v[1:2]
	v_add_f64 v[1:2], v[1:2], v[3:4]
	s_waitcnt lgkmcnt(0)
	v_add_f64 v[1:2], v[1:2], v[6:7]
	v_add_f64 v[10:11], v[1:2], v[8:9]
	;; [unrolled: 8-line block ×7, first 2 shown]
	ds_read2_b64 v[1:4], v14 offset0:29 offset1:30
	ds_read_b64 v[8:9], v14 offset:248
	s_waitcnt lgkmcnt(1)
	v_add_f64 v[1:2], v[6:7], v[1:2]
	v_add_f64 v[1:2], v[1:2], v[3:4]
	s_waitcnt lgkmcnt(0)
	v_add_f64 v[1:2], v[1:2], v[8:9]
	ds_write_b64 v14, v[1:2]
.LBB9_10:
	s_or_b32 exec_lo, exec_lo, s1
	s_waitcnt lgkmcnt(0)
	s_barrier
	buffer_gl0_inv
	s_and_saveexec_b32 s0, vcc_lo
	s_cbranch_execz .LBB9_13
; %bb.11:
	s_mul_i32 s0, s16, s27
	s_mul_hi_u32 s1, s16, s8
	s_mul_i32 s2, s17, s8
	s_add_i32 s0, s1, s0
	v_mov_b32_e32 v1, 0
	s_add_i32 s1, s0, s2
	s_mul_i32 s0, s16, s8
	v_mad_i64_i32 v[3:4], null, s6, v0, 0
	s_lshl_b64 s[0:1], s[0:1], 3
	ds_read_b64 v[1:2], v1
	s_add_u32 s0, s14, s0
	s_addc_u32 s1, s15, s1
	s_lshl_b64 s[2:3], s[10:11], 3
	s_load_dwordx2 s[0:1], s[0:1], 0x0
	s_ashr_i32 s7, s6, 31
	s_lshl_b64 s[4:5], s[20:21], 3
	v_lshlrev_b64 v[3:4], 3, v[3:4]
	v_add3_u32 v5, v5, 0, 0x100
	s_waitcnt lgkmcnt(0)
	v_mul_f64 v[1:2], v[1:2], -s[0:1]
	s_add_i32 s0, s26, s24
	s_add_i32 s23, s0, s25
	s_lshl_b64 s[0:1], s[22:23], 3
	s_add_u32 s2, s18, s2
	s_addc_u32 s3, s19, s3
	s_add_u32 s2, s2, s4
	s_addc_u32 s3, s3, s5
	;; [unrolled: 2-line block ×3, first 2 shown]
	v_add_co_u32 v3, vcc_lo, s0, v3
	v_add_co_ci_u32_e64 v4, null, s1, v4, vcc_lo
	s_mov_b32 s1, 0
	s_lshl_b64 s[2:3], s[6:7], 13
	.p2align	6
.LBB9_12:                               ; =>This Inner Loop Header: Depth=1
	global_load_dwordx2 v[6:7], v[3:4], off
	ds_read_b64 v[8:9], v5
	v_add_nc_u32_e32 v0, 0x400, v0
	v_add_nc_u32_e32 v5, 0x2000, v5
	v_cmp_le_i32_e32 vcc_lo, s9, v0
	s_or_b32 s1, vcc_lo, s1
	s_waitcnt vmcnt(0) lgkmcnt(0)
	v_fma_f64 v[6:7], v[1:2], v[8:9], v[6:7]
	global_store_dwordx2 v[3:4], v[6:7], off
	v_add_co_u32 v3, s0, v3, s2
	v_add_co_ci_u32_e64 v4, null, s3, v4, s0
	s_andn2_b32 exec_lo, exec_lo, s1
	s_cbranch_execnz .LBB9_12
.LBB9_13:
	s_endpgm
	.section	.rodata,"a",@progbits
	.p2align	6, 0x0
	.amdhsa_kernel _ZN9rocsolver6v33100L17larf_right_kernelILi1024EdiPdEEvT1_S3_T2_lS3_lPKT0_lS4_lS3_l
		.amdhsa_group_segment_fixed_size 0
		.amdhsa_private_segment_fixed_size 0
		.amdhsa_kernarg_size 88
		.amdhsa_user_sgpr_count 6
		.amdhsa_user_sgpr_private_segment_buffer 1
		.amdhsa_user_sgpr_dispatch_ptr 0
		.amdhsa_user_sgpr_queue_ptr 0
		.amdhsa_user_sgpr_kernarg_segment_ptr 1
		.amdhsa_user_sgpr_dispatch_id 0
		.amdhsa_user_sgpr_flat_scratch_init 0
		.amdhsa_user_sgpr_private_segment_size 0
		.amdhsa_wavefront_size32 1
		.amdhsa_uses_dynamic_stack 0
		.amdhsa_system_sgpr_private_segment_wavefront_offset 0
		.amdhsa_system_sgpr_workgroup_id_x 1
		.amdhsa_system_sgpr_workgroup_id_y 1
		.amdhsa_system_sgpr_workgroup_id_z 1
		.amdhsa_system_sgpr_workgroup_info 0
		.amdhsa_system_vgpr_workitem_id 0
		.amdhsa_next_free_vgpr 15
		.amdhsa_next_free_sgpr 34
		.amdhsa_reserve_vcc 1
		.amdhsa_reserve_flat_scratch 0
		.amdhsa_float_round_mode_32 0
		.amdhsa_float_round_mode_16_64 0
		.amdhsa_float_denorm_mode_32 3
		.amdhsa_float_denorm_mode_16_64 3
		.amdhsa_dx10_clamp 1
		.amdhsa_ieee_mode 1
		.amdhsa_fp16_overflow 0
		.amdhsa_workgroup_processor_mode 1
		.amdhsa_memory_ordered 1
		.amdhsa_forward_progress 1
		.amdhsa_shared_vgpr_count 0
		.amdhsa_exception_fp_ieee_invalid_op 0
		.amdhsa_exception_fp_denorm_src 0
		.amdhsa_exception_fp_ieee_div_zero 0
		.amdhsa_exception_fp_ieee_overflow 0
		.amdhsa_exception_fp_ieee_underflow 0
		.amdhsa_exception_fp_ieee_inexact 0
		.amdhsa_exception_int_div_zero 0
	.end_amdhsa_kernel
	.section	.text._ZN9rocsolver6v33100L17larf_right_kernelILi1024EdiPdEEvT1_S3_T2_lS3_lPKT0_lS4_lS3_l,"axG",@progbits,_ZN9rocsolver6v33100L17larf_right_kernelILi1024EdiPdEEvT1_S3_T2_lS3_lPKT0_lS4_lS3_l,comdat
.Lfunc_end9:
	.size	_ZN9rocsolver6v33100L17larf_right_kernelILi1024EdiPdEEvT1_S3_T2_lS3_lPKT0_lS4_lS3_l, .Lfunc_end9-_ZN9rocsolver6v33100L17larf_right_kernelILi1024EdiPdEEvT1_S3_T2_lS3_lPKT0_lS4_lS3_l
                                        ; -- End function
	.set _ZN9rocsolver6v33100L17larf_right_kernelILi1024EdiPdEEvT1_S3_T2_lS3_lPKT0_lS4_lS3_l.num_vgpr, 15
	.set _ZN9rocsolver6v33100L17larf_right_kernelILi1024EdiPdEEvT1_S3_T2_lS3_lPKT0_lS4_lS3_l.num_agpr, 0
	.set _ZN9rocsolver6v33100L17larf_right_kernelILi1024EdiPdEEvT1_S3_T2_lS3_lPKT0_lS4_lS3_l.numbered_sgpr, 34
	.set _ZN9rocsolver6v33100L17larf_right_kernelILi1024EdiPdEEvT1_S3_T2_lS3_lPKT0_lS4_lS3_l.num_named_barrier, 0
	.set _ZN9rocsolver6v33100L17larf_right_kernelILi1024EdiPdEEvT1_S3_T2_lS3_lPKT0_lS4_lS3_l.private_seg_size, 0
	.set _ZN9rocsolver6v33100L17larf_right_kernelILi1024EdiPdEEvT1_S3_T2_lS3_lPKT0_lS4_lS3_l.uses_vcc, 1
	.set _ZN9rocsolver6v33100L17larf_right_kernelILi1024EdiPdEEvT1_S3_T2_lS3_lPKT0_lS4_lS3_l.uses_flat_scratch, 0
	.set _ZN9rocsolver6v33100L17larf_right_kernelILi1024EdiPdEEvT1_S3_T2_lS3_lPKT0_lS4_lS3_l.has_dyn_sized_stack, 0
	.set _ZN9rocsolver6v33100L17larf_right_kernelILi1024EdiPdEEvT1_S3_T2_lS3_lPKT0_lS4_lS3_l.has_recursion, 0
	.set _ZN9rocsolver6v33100L17larf_right_kernelILi1024EdiPdEEvT1_S3_T2_lS3_lPKT0_lS4_lS3_l.has_indirect_call, 0
	.section	.AMDGPU.csdata,"",@progbits
; Kernel info:
; codeLenInByte = 1688
; TotalNumSgprs: 36
; NumVgprs: 15
; ScratchSize: 0
; MemoryBound: 0
; FloatMode: 240
; IeeeMode: 1
; LDSByteSize: 0 bytes/workgroup (compile time only)
; SGPRBlocks: 0
; VGPRBlocks: 1
; NumSGPRsForWavesPerEU: 36
; NumVGPRsForWavesPerEU: 15
; Occupancy: 16
; WaveLimiterHint : 0
; COMPUTE_PGM_RSRC2:SCRATCH_EN: 0
; COMPUTE_PGM_RSRC2:USER_SGPR: 6
; COMPUTE_PGM_RSRC2:TRAP_HANDLER: 0
; COMPUTE_PGM_RSRC2:TGID_X_EN: 1
; COMPUTE_PGM_RSRC2:TGID_Y_EN: 1
; COMPUTE_PGM_RSRC2:TGID_Z_EN: 1
; COMPUTE_PGM_RSRC2:TIDIG_COMP_CNT: 0
	.section	.text._ZN9rocsolver6v33100L12subtract_tauIdPdEEviiT0_iilPT_l,"axG",@progbits,_ZN9rocsolver6v33100L12subtract_tauIdPdEEviiT0_iilPT_l,comdat
	.globl	_ZN9rocsolver6v33100L12subtract_tauIdPdEEviiT0_iilPT_l ; -- Begin function _ZN9rocsolver6v33100L12subtract_tauIdPdEEviiT0_iilPT_l
	.p2align	8
	.type	_ZN9rocsolver6v33100L12subtract_tauIdPdEEviiT0_iilPT_l,@function
_ZN9rocsolver6v33100L12subtract_tauIdPdEEviiT0_iilPT_l: ; @_ZN9rocsolver6v33100L12subtract_tauIdPdEEviiT0_iilPT_l
; %bb.0:
	s_clause 0x3
	s_load_dwordx2 s[12:13], s[4:5], 0x10
	s_load_dwordx4 s[0:3], s[4:5], 0x18
	s_load_dwordx2 s[14:15], s[4:5], 0x28
	s_load_dwordx4 s[8:11], s[4:5], 0x0
	v_mov_b32_e32 v4, 0
	s_waitcnt lgkmcnt(0)
	s_ashr_i32 s5, s12, 31
	s_mul_i32 s1, s1, s6
	s_mul_hi_u32 s4, s0, s6
	s_mul_i32 s0, s0, s6
	s_add_i32 s1, s4, s1
	s_mov_b32 s4, s12
	s_lshl_b64 s[0:1], s[0:1], 3
	s_mul_i32 s7, s15, s6
	s_add_u32 s10, s10, s0
	s_addc_u32 s11, s11, s1
	s_lshl_b64 s[0:1], s[4:5], 3
	s_mul_hi_u32 s4, s14, s6
	s_add_u32 s10, s10, s0
	s_addc_u32 s11, s11, s1
	s_add_i32 s1, s4, s7
	s_mul_i32 s0, s14, s6
	s_mul_i32 s4, s13, s9
	s_lshl_b64 s[0:1], s[0:1], 3
	s_add_u32 s0, s2, s0
	s_addc_u32 s1, s3, s1
	s_add_i32 s4, s4, s8
	s_load_dwordx2 s[2:3], s[0:1], 0x0
	s_ashr_i32 s5, s4, 31
	s_waitcnt lgkmcnt(0)
	v_add_f64 v[0:1], -s[2:3], 1.0
	s_xor_b32 s3, s3, 0x80000000
	v_mov_b32_e32 v2, s2
	v_mov_b32_e32 v3, s3
	s_lshl_b64 s[2:3], s[4:5], 3
	s_add_u32 s2, s10, s2
	s_addc_u32 s3, s11, s3
	global_store_dwordx2 v4, v[2:3], s[0:1]
	global_store_dwordx2 v4, v[0:1], s[2:3]
	s_endpgm
	.section	.rodata,"a",@progbits
	.p2align	6, 0x0
	.amdhsa_kernel _ZN9rocsolver6v33100L12subtract_tauIdPdEEviiT0_iilPT_l
		.amdhsa_group_segment_fixed_size 0
		.amdhsa_private_segment_fixed_size 0
		.amdhsa_kernarg_size 48
		.amdhsa_user_sgpr_count 6
		.amdhsa_user_sgpr_private_segment_buffer 1
		.amdhsa_user_sgpr_dispatch_ptr 0
		.amdhsa_user_sgpr_queue_ptr 0
		.amdhsa_user_sgpr_kernarg_segment_ptr 1
		.amdhsa_user_sgpr_dispatch_id 0
		.amdhsa_user_sgpr_flat_scratch_init 0
		.amdhsa_user_sgpr_private_segment_size 0
		.amdhsa_wavefront_size32 1
		.amdhsa_uses_dynamic_stack 0
		.amdhsa_system_sgpr_private_segment_wavefront_offset 0
		.amdhsa_system_sgpr_workgroup_id_x 1
		.amdhsa_system_sgpr_workgroup_id_y 0
		.amdhsa_system_sgpr_workgroup_id_z 0
		.amdhsa_system_sgpr_workgroup_info 0
		.amdhsa_system_vgpr_workitem_id 0
		.amdhsa_next_free_vgpr 5
		.amdhsa_next_free_sgpr 16
		.amdhsa_reserve_vcc 0
		.amdhsa_reserve_flat_scratch 0
		.amdhsa_float_round_mode_32 0
		.amdhsa_float_round_mode_16_64 0
		.amdhsa_float_denorm_mode_32 3
		.amdhsa_float_denorm_mode_16_64 3
		.amdhsa_dx10_clamp 1
		.amdhsa_ieee_mode 1
		.amdhsa_fp16_overflow 0
		.amdhsa_workgroup_processor_mode 1
		.amdhsa_memory_ordered 1
		.amdhsa_forward_progress 1
		.amdhsa_shared_vgpr_count 0
		.amdhsa_exception_fp_ieee_invalid_op 0
		.amdhsa_exception_fp_denorm_src 0
		.amdhsa_exception_fp_ieee_div_zero 0
		.amdhsa_exception_fp_ieee_overflow 0
		.amdhsa_exception_fp_ieee_underflow 0
		.amdhsa_exception_fp_ieee_inexact 0
		.amdhsa_exception_int_div_zero 0
	.end_amdhsa_kernel
	.section	.text._ZN9rocsolver6v33100L12subtract_tauIdPdEEviiT0_iilPT_l,"axG",@progbits,_ZN9rocsolver6v33100L12subtract_tauIdPdEEviiT0_iilPT_l,comdat
.Lfunc_end10:
	.size	_ZN9rocsolver6v33100L12subtract_tauIdPdEEviiT0_iilPT_l, .Lfunc_end10-_ZN9rocsolver6v33100L12subtract_tauIdPdEEviiT0_iilPT_l
                                        ; -- End function
	.set _ZN9rocsolver6v33100L12subtract_tauIdPdEEviiT0_iilPT_l.num_vgpr, 5
	.set _ZN9rocsolver6v33100L12subtract_tauIdPdEEviiT0_iilPT_l.num_agpr, 0
	.set _ZN9rocsolver6v33100L12subtract_tauIdPdEEviiT0_iilPT_l.numbered_sgpr, 16
	.set _ZN9rocsolver6v33100L12subtract_tauIdPdEEviiT0_iilPT_l.num_named_barrier, 0
	.set _ZN9rocsolver6v33100L12subtract_tauIdPdEEviiT0_iilPT_l.private_seg_size, 0
	.set _ZN9rocsolver6v33100L12subtract_tauIdPdEEviiT0_iilPT_l.uses_vcc, 0
	.set _ZN9rocsolver6v33100L12subtract_tauIdPdEEviiT0_iilPT_l.uses_flat_scratch, 0
	.set _ZN9rocsolver6v33100L12subtract_tauIdPdEEviiT0_iilPT_l.has_dyn_sized_stack, 0
	.set _ZN9rocsolver6v33100L12subtract_tauIdPdEEviiT0_iilPT_l.has_recursion, 0
	.set _ZN9rocsolver6v33100L12subtract_tauIdPdEEviiT0_iilPT_l.has_indirect_call, 0
	.section	.AMDGPU.csdata,"",@progbits
; Kernel info:
; codeLenInByte = 200
; TotalNumSgprs: 16
; NumVgprs: 5
; ScratchSize: 0
; MemoryBound: 0
; FloatMode: 240
; IeeeMode: 1
; LDSByteSize: 0 bytes/workgroup (compile time only)
; SGPRBlocks: 0
; VGPRBlocks: 0
; NumSGPRsForWavesPerEU: 16
; NumVGPRsForWavesPerEU: 5
; Occupancy: 16
; WaveLimiterHint : 0
; COMPUTE_PGM_RSRC2:SCRATCH_EN: 0
; COMPUTE_PGM_RSRC2:USER_SGPR: 6
; COMPUTE_PGM_RSRC2:TRAP_HANDLER: 0
; COMPUTE_PGM_RSRC2:TGID_X_EN: 1
; COMPUTE_PGM_RSRC2:TGID_Y_EN: 0
; COMPUTE_PGM_RSRC2:TGID_Z_EN: 0
; COMPUTE_PGM_RSRC2:TIDIG_COMP_CNT: 0
	.section	.text._ZN9rocsolver6v33100L6restauIdEEviPT_l,"axG",@progbits,_ZN9rocsolver6v33100L6restauIdEEviPT_l,comdat
	.globl	_ZN9rocsolver6v33100L6restauIdEEviPT_l ; -- Begin function _ZN9rocsolver6v33100L6restauIdEEviPT_l
	.p2align	8
	.type	_ZN9rocsolver6v33100L6restauIdEEviPT_l,@function
_ZN9rocsolver6v33100L6restauIdEEviPT_l: ; @_ZN9rocsolver6v33100L6restauIdEEviPT_l
; %bb.0:
	s_clause 0x1
	s_load_dword s0, s[4:5], 0x24
	s_load_dword s1, s[4:5], 0x0
	s_waitcnt lgkmcnt(0)
	s_and_b32 s0, s0, 0xffff
	v_mad_u64_u32 v[0:1], null, s6, s0, v[0:1]
	s_mov_b32 s0, exec_lo
	v_cmpx_gt_u32_e64 s1, v0
	s_cbranch_execz .LBB11_2
; %bb.1:
	s_load_dwordx4 s[0:3], s[4:5], 0x8
	v_mov_b32_e32 v1, 0
	v_lshlrev_b64 v[0:1], 3, v[0:1]
	s_waitcnt lgkmcnt(0)
	s_mul_i32 s3, s3, s7
	s_mul_hi_u32 s4, s2, s7
	s_mul_i32 s2, s2, s7
	s_add_i32 s3, s4, s3
	s_lshl_b64 s[2:3], s[2:3], 3
	s_add_u32 s0, s0, s2
	s_addc_u32 s1, s1, s3
	v_add_co_u32 v0, vcc_lo, s0, v0
	v_add_co_ci_u32_e64 v1, null, s1, v1, vcc_lo
	global_load_dwordx2 v[2:3], v[0:1], off
	s_waitcnt vmcnt(0)
	v_xor_b32_e32 v3, 0x80000000, v3
	global_store_dwordx2 v[0:1], v[2:3], off
.LBB11_2:
	s_endpgm
	.section	.rodata,"a",@progbits
	.p2align	6, 0x0
	.amdhsa_kernel _ZN9rocsolver6v33100L6restauIdEEviPT_l
		.amdhsa_group_segment_fixed_size 0
		.amdhsa_private_segment_fixed_size 0
		.amdhsa_kernarg_size 280
		.amdhsa_user_sgpr_count 6
		.amdhsa_user_sgpr_private_segment_buffer 1
		.amdhsa_user_sgpr_dispatch_ptr 0
		.amdhsa_user_sgpr_queue_ptr 0
		.amdhsa_user_sgpr_kernarg_segment_ptr 1
		.amdhsa_user_sgpr_dispatch_id 0
		.amdhsa_user_sgpr_flat_scratch_init 0
		.amdhsa_user_sgpr_private_segment_size 0
		.amdhsa_wavefront_size32 1
		.amdhsa_uses_dynamic_stack 0
		.amdhsa_system_sgpr_private_segment_wavefront_offset 0
		.amdhsa_system_sgpr_workgroup_id_x 1
		.amdhsa_system_sgpr_workgroup_id_y 1
		.amdhsa_system_sgpr_workgroup_id_z 0
		.amdhsa_system_sgpr_workgroup_info 0
		.amdhsa_system_vgpr_workitem_id 0
		.amdhsa_next_free_vgpr 4
		.amdhsa_next_free_sgpr 8
		.amdhsa_reserve_vcc 1
		.amdhsa_reserve_flat_scratch 0
		.amdhsa_float_round_mode_32 0
		.amdhsa_float_round_mode_16_64 0
		.amdhsa_float_denorm_mode_32 3
		.amdhsa_float_denorm_mode_16_64 3
		.amdhsa_dx10_clamp 1
		.amdhsa_ieee_mode 1
		.amdhsa_fp16_overflow 0
		.amdhsa_workgroup_processor_mode 1
		.amdhsa_memory_ordered 1
		.amdhsa_forward_progress 1
		.amdhsa_shared_vgpr_count 0
		.amdhsa_exception_fp_ieee_invalid_op 0
		.amdhsa_exception_fp_denorm_src 0
		.amdhsa_exception_fp_ieee_div_zero 0
		.amdhsa_exception_fp_ieee_overflow 0
		.amdhsa_exception_fp_ieee_underflow 0
		.amdhsa_exception_fp_ieee_inexact 0
		.amdhsa_exception_int_div_zero 0
	.end_amdhsa_kernel
	.section	.text._ZN9rocsolver6v33100L6restauIdEEviPT_l,"axG",@progbits,_ZN9rocsolver6v33100L6restauIdEEviPT_l,comdat
.Lfunc_end11:
	.size	_ZN9rocsolver6v33100L6restauIdEEviPT_l, .Lfunc_end11-_ZN9rocsolver6v33100L6restauIdEEviPT_l
                                        ; -- End function
	.set _ZN9rocsolver6v33100L6restauIdEEviPT_l.num_vgpr, 4
	.set _ZN9rocsolver6v33100L6restauIdEEviPT_l.num_agpr, 0
	.set _ZN9rocsolver6v33100L6restauIdEEviPT_l.numbered_sgpr, 8
	.set _ZN9rocsolver6v33100L6restauIdEEviPT_l.num_named_barrier, 0
	.set _ZN9rocsolver6v33100L6restauIdEEviPT_l.private_seg_size, 0
	.set _ZN9rocsolver6v33100L6restauIdEEviPT_l.uses_vcc, 1
	.set _ZN9rocsolver6v33100L6restauIdEEviPT_l.uses_flat_scratch, 0
	.set _ZN9rocsolver6v33100L6restauIdEEviPT_l.has_dyn_sized_stack, 0
	.set _ZN9rocsolver6v33100L6restauIdEEviPT_l.has_recursion, 0
	.set _ZN9rocsolver6v33100L6restauIdEEviPT_l.has_indirect_call, 0
	.section	.AMDGPU.csdata,"",@progbits
; Kernel info:
; codeLenInByte = 156
; TotalNumSgprs: 10
; NumVgprs: 4
; ScratchSize: 0
; MemoryBound: 0
; FloatMode: 240
; IeeeMode: 1
; LDSByteSize: 0 bytes/workgroup (compile time only)
; SGPRBlocks: 0
; VGPRBlocks: 0
; NumSGPRsForWavesPerEU: 10
; NumVGPRsForWavesPerEU: 4
; Occupancy: 16
; WaveLimiterHint : 0
; COMPUTE_PGM_RSRC2:SCRATCH_EN: 0
; COMPUTE_PGM_RSRC2:USER_SGPR: 6
; COMPUTE_PGM_RSRC2:TRAP_HANDLER: 0
; COMPUTE_PGM_RSRC2:TGID_X_EN: 1
; COMPUTE_PGM_RSRC2:TGID_Y_EN: 1
; COMPUTE_PGM_RSRC2:TGID_Z_EN: 0
; COMPUTE_PGM_RSRC2:TIDIG_COMP_CNT: 0
	.section	.text._ZN9rocsolver6v33100L6iota_nI19rocblas_complex_numIfEEEvPT_jS4_,"axG",@progbits,_ZN9rocsolver6v33100L6iota_nI19rocblas_complex_numIfEEEvPT_jS4_,comdat
	.globl	_ZN9rocsolver6v33100L6iota_nI19rocblas_complex_numIfEEEvPT_jS4_ ; -- Begin function _ZN9rocsolver6v33100L6iota_nI19rocblas_complex_numIfEEEvPT_jS4_
	.p2align	8
	.type	_ZN9rocsolver6v33100L6iota_nI19rocblas_complex_numIfEEEvPT_jS4_,@function
_ZN9rocsolver6v33100L6iota_nI19rocblas_complex_numIfEEEvPT_jS4_: ; @_ZN9rocsolver6v33100L6iota_nI19rocblas_complex_numIfEEEvPT_jS4_
; %bb.0:
	s_load_dword s0, s[4:5], 0x8
	s_waitcnt lgkmcnt(0)
	v_cmp_gt_u32_e32 vcc_lo, s0, v0
	s_and_saveexec_b32 s0, vcc_lo
	s_cbranch_execz .LBB12_2
; %bb.1:
	s_clause 0x1
	s_load_dwordx2 s[0:1], s[4:5], 0xc
	s_load_dwordx2 s[2:3], s[4:5], 0x0
	v_cvt_f32_ubyte0_e32 v1, v0
	v_lshlrev_b32_e32 v0, 3, v0
	s_waitcnt lgkmcnt(0)
	v_add_f32_e32 v1, s0, v1
	v_add_f32_e64 v2, s1, 0
	global_store_dwordx2 v0, v[1:2], s[2:3]
.LBB12_2:
	s_endpgm
	.section	.rodata,"a",@progbits
	.p2align	6, 0x0
	.amdhsa_kernel _ZN9rocsolver6v33100L6iota_nI19rocblas_complex_numIfEEEvPT_jS4_
		.amdhsa_group_segment_fixed_size 0
		.amdhsa_private_segment_fixed_size 0
		.amdhsa_kernarg_size 20
		.amdhsa_user_sgpr_count 6
		.amdhsa_user_sgpr_private_segment_buffer 1
		.amdhsa_user_sgpr_dispatch_ptr 0
		.amdhsa_user_sgpr_queue_ptr 0
		.amdhsa_user_sgpr_kernarg_segment_ptr 1
		.amdhsa_user_sgpr_dispatch_id 0
		.amdhsa_user_sgpr_flat_scratch_init 0
		.amdhsa_user_sgpr_private_segment_size 0
		.amdhsa_wavefront_size32 1
		.amdhsa_uses_dynamic_stack 0
		.amdhsa_system_sgpr_private_segment_wavefront_offset 0
		.amdhsa_system_sgpr_workgroup_id_x 1
		.amdhsa_system_sgpr_workgroup_id_y 0
		.amdhsa_system_sgpr_workgroup_id_z 0
		.amdhsa_system_sgpr_workgroup_info 0
		.amdhsa_system_vgpr_workitem_id 0
		.amdhsa_next_free_vgpr 3
		.amdhsa_next_free_sgpr 6
		.amdhsa_reserve_vcc 1
		.amdhsa_reserve_flat_scratch 0
		.amdhsa_float_round_mode_32 0
		.amdhsa_float_round_mode_16_64 0
		.amdhsa_float_denorm_mode_32 3
		.amdhsa_float_denorm_mode_16_64 3
		.amdhsa_dx10_clamp 1
		.amdhsa_ieee_mode 1
		.amdhsa_fp16_overflow 0
		.amdhsa_workgroup_processor_mode 1
		.amdhsa_memory_ordered 1
		.amdhsa_forward_progress 1
		.amdhsa_shared_vgpr_count 0
		.amdhsa_exception_fp_ieee_invalid_op 0
		.amdhsa_exception_fp_denorm_src 0
		.amdhsa_exception_fp_ieee_div_zero 0
		.amdhsa_exception_fp_ieee_overflow 0
		.amdhsa_exception_fp_ieee_underflow 0
		.amdhsa_exception_fp_ieee_inexact 0
		.amdhsa_exception_int_div_zero 0
	.end_amdhsa_kernel
	.section	.text._ZN9rocsolver6v33100L6iota_nI19rocblas_complex_numIfEEEvPT_jS4_,"axG",@progbits,_ZN9rocsolver6v33100L6iota_nI19rocblas_complex_numIfEEEvPT_jS4_,comdat
.Lfunc_end12:
	.size	_ZN9rocsolver6v33100L6iota_nI19rocblas_complex_numIfEEEvPT_jS4_, .Lfunc_end12-_ZN9rocsolver6v33100L6iota_nI19rocblas_complex_numIfEEEvPT_jS4_
                                        ; -- End function
	.set _ZN9rocsolver6v33100L6iota_nI19rocblas_complex_numIfEEEvPT_jS4_.num_vgpr, 3
	.set _ZN9rocsolver6v33100L6iota_nI19rocblas_complex_numIfEEEvPT_jS4_.num_agpr, 0
	.set _ZN9rocsolver6v33100L6iota_nI19rocblas_complex_numIfEEEvPT_jS4_.numbered_sgpr, 6
	.set _ZN9rocsolver6v33100L6iota_nI19rocblas_complex_numIfEEEvPT_jS4_.num_named_barrier, 0
	.set _ZN9rocsolver6v33100L6iota_nI19rocblas_complex_numIfEEEvPT_jS4_.private_seg_size, 0
	.set _ZN9rocsolver6v33100L6iota_nI19rocblas_complex_numIfEEEvPT_jS4_.uses_vcc, 1
	.set _ZN9rocsolver6v33100L6iota_nI19rocblas_complex_numIfEEEvPT_jS4_.uses_flat_scratch, 0
	.set _ZN9rocsolver6v33100L6iota_nI19rocblas_complex_numIfEEEvPT_jS4_.has_dyn_sized_stack, 0
	.set _ZN9rocsolver6v33100L6iota_nI19rocblas_complex_numIfEEEvPT_jS4_.has_recursion, 0
	.set _ZN9rocsolver6v33100L6iota_nI19rocblas_complex_numIfEEEvPT_jS4_.has_indirect_call, 0
	.section	.AMDGPU.csdata,"",@progbits
; Kernel info:
; codeLenInByte = 80
; TotalNumSgprs: 8
; NumVgprs: 3
; ScratchSize: 0
; MemoryBound: 0
; FloatMode: 240
; IeeeMode: 1
; LDSByteSize: 0 bytes/workgroup (compile time only)
; SGPRBlocks: 0
; VGPRBlocks: 0
; NumSGPRsForWavesPerEU: 8
; NumVGPRsForWavesPerEU: 3
; Occupancy: 16
; WaveLimiterHint : 0
; COMPUTE_PGM_RSRC2:SCRATCH_EN: 0
; COMPUTE_PGM_RSRC2:USER_SGPR: 6
; COMPUTE_PGM_RSRC2:TRAP_HANDLER: 0
; COMPUTE_PGM_RSRC2:TGID_X_EN: 1
; COMPUTE_PGM_RSRC2:TGID_Y_EN: 0
; COMPUTE_PGM_RSRC2:TGID_Z_EN: 0
; COMPUTE_PGM_RSRC2:TIDIG_COMP_CNT: 0
	.section	.text._ZN9rocsolver6v33100L16org2l_init_identI19rocblas_complex_numIfEPS3_EEviiiT0_iil,"axG",@progbits,_ZN9rocsolver6v33100L16org2l_init_identI19rocblas_complex_numIfEPS3_EEviiiT0_iil,comdat
	.globl	_ZN9rocsolver6v33100L16org2l_init_identI19rocblas_complex_numIfEPS3_EEviiiT0_iil ; -- Begin function _ZN9rocsolver6v33100L16org2l_init_identI19rocblas_complex_numIfEPS3_EEviiiT0_iil
	.p2align	8
	.type	_ZN9rocsolver6v33100L16org2l_init_identI19rocblas_complex_numIfEPS3_EEviiiT0_iil,@function
_ZN9rocsolver6v33100L16org2l_init_identI19rocblas_complex_numIfEPS3_EEviiiT0_iil: ; @_ZN9rocsolver6v33100L16org2l_init_identI19rocblas_complex_numIfEPS3_EEviiiT0_iil
; %bb.0:
	s_clause 0x1
	s_load_dword s0, s[4:5], 0x34
	s_load_dwordx4 s[12:15], s[4:5], 0x0
	s_waitcnt lgkmcnt(0)
	s_lshr_b32 s1, s0, 16
	s_and_b32 s0, s0, 0xffff
	v_mad_u64_u32 v[2:3], null, s6, s0, v[0:1]
	v_mad_u64_u32 v[0:1], null, s7, s1, v[1:2]
	v_cmp_gt_u32_e32 vcc_lo, s12, v2
	v_cmp_gt_u32_e64 s0, s13, v0
	s_and_b32 s0, vcc_lo, s0
	s_and_saveexec_b32 s1, s0
	s_cbranch_execz .LBB13_11
; %bb.1:
	s_clause 0x1
	s_load_dwordx2 s[6:7], s[4:5], 0x20
	s_load_dwordx4 s[0:3], s[4:5], 0x10
	s_waitcnt lgkmcnt(0)
	s_mul_i32 s5, s7, s8
	s_mul_hi_u32 s7, s6, s8
	s_mul_i32 s4, s6, s8
	s_add_i32 s5, s7, s5
	s_ashr_i32 s7, s2, 31
	s_lshl_b64 s[4:5], s[4:5], 3
	s_mov_b32 s6, s2
	s_add_u32 s2, s0, s4
	s_addc_u32 s4, s1, s5
	s_lshl_b64 s[0:1], s[6:7], 3
	s_add_u32 s0, s2, s0
	s_addc_u32 s1, s4, s1
	s_sub_i32 s2, s12, s13
	v_add_nc_u32_e32 v1, s2, v0
	s_mov_b32 s2, exec_lo
	v_cmpx_ne_u32_e64 v2, v1
	s_xor_b32 s2, exec_lo, s2
	s_cbranch_execz .LBB13_9
; %bb.2:
	s_mov_b32 s4, exec_lo
	v_cmpx_le_u32_e64 v2, v1
	s_xor_b32 s4, exec_lo, s4
	s_cbranch_execz .LBB13_6
; %bb.3:
	s_sub_i32 s5, s13, s14
	v_cmp_gt_u32_e32 vcc_lo, s5, v0
	s_and_saveexec_b32 s5, vcc_lo
	s_cbranch_execz .LBB13_5
; %bb.4:
	v_mad_u64_u32 v[0:1], null, v0, s3, v[2:3]
	v_mov_b32_e32 v1, 0
	v_lshlrev_b64 v[2:3], 3, v[0:1]
	v_mov_b32_e32 v0, v1
	v_add_co_u32 v2, vcc_lo, s0, v2
	v_add_co_ci_u32_e64 v3, null, s1, v3, vcc_lo
	global_store_dwordx2 v[2:3], v[0:1], off
.LBB13_5:
	s_or_b32 exec_lo, exec_lo, s5
                                        ; implicit-def: $vgpr2_vgpr3
                                        ; implicit-def: $vgpr0_vgpr1
.LBB13_6:
	s_andn2_saveexec_b32 s4, s4
	s_cbranch_execz .LBB13_8
; %bb.7:
	v_mad_u64_u32 v[0:1], null, v0, s3, v[2:3]
	v_mov_b32_e32 v1, 0
	v_lshlrev_b64 v[2:3], 3, v[0:1]
	v_mov_b32_e32 v0, v1
	v_add_co_u32 v2, vcc_lo, s0, v2
	v_add_co_ci_u32_e64 v3, null, s1, v3, vcc_lo
	global_store_dwordx2 v[2:3], v[0:1], off
.LBB13_8:
	s_or_b32 exec_lo, exec_lo, s4
                                        ; implicit-def: $vgpr2_vgpr3
                                        ; implicit-def: $vgpr0_vgpr1
.LBB13_9:
	s_andn2_saveexec_b32 s2, s2
	s_cbranch_execz .LBB13_11
; %bb.10:
	v_mad_u64_u32 v[0:1], null, v0, s3, v[2:3]
	v_mov_b32_e32 v1, 0
	v_lshlrev_b64 v[2:3], 3, v[0:1]
	v_mov_b32_e32 v0, 1.0
	v_add_co_u32 v2, vcc_lo, s0, v2
	v_add_co_ci_u32_e64 v3, null, s1, v3, vcc_lo
	global_store_dwordx2 v[2:3], v[0:1], off
.LBB13_11:
	s_endpgm
	.section	.rodata,"a",@progbits
	.p2align	6, 0x0
	.amdhsa_kernel _ZN9rocsolver6v33100L16org2l_init_identI19rocblas_complex_numIfEPS3_EEviiiT0_iil
		.amdhsa_group_segment_fixed_size 0
		.amdhsa_private_segment_fixed_size 0
		.amdhsa_kernarg_size 296
		.amdhsa_user_sgpr_count 6
		.amdhsa_user_sgpr_private_segment_buffer 1
		.amdhsa_user_sgpr_dispatch_ptr 0
		.amdhsa_user_sgpr_queue_ptr 0
		.amdhsa_user_sgpr_kernarg_segment_ptr 1
		.amdhsa_user_sgpr_dispatch_id 0
		.amdhsa_user_sgpr_flat_scratch_init 0
		.amdhsa_user_sgpr_private_segment_size 0
		.amdhsa_wavefront_size32 1
		.amdhsa_uses_dynamic_stack 0
		.amdhsa_system_sgpr_private_segment_wavefront_offset 0
		.amdhsa_system_sgpr_workgroup_id_x 1
		.amdhsa_system_sgpr_workgroup_id_y 1
		.amdhsa_system_sgpr_workgroup_id_z 1
		.amdhsa_system_sgpr_workgroup_info 0
		.amdhsa_system_vgpr_workitem_id 1
		.amdhsa_next_free_vgpr 4
		.amdhsa_next_free_sgpr 16
		.amdhsa_reserve_vcc 1
		.amdhsa_reserve_flat_scratch 0
		.amdhsa_float_round_mode_32 0
		.amdhsa_float_round_mode_16_64 0
		.amdhsa_float_denorm_mode_32 3
		.amdhsa_float_denorm_mode_16_64 3
		.amdhsa_dx10_clamp 1
		.amdhsa_ieee_mode 1
		.amdhsa_fp16_overflow 0
		.amdhsa_workgroup_processor_mode 1
		.amdhsa_memory_ordered 1
		.amdhsa_forward_progress 1
		.amdhsa_shared_vgpr_count 0
		.amdhsa_exception_fp_ieee_invalid_op 0
		.amdhsa_exception_fp_denorm_src 0
		.amdhsa_exception_fp_ieee_div_zero 0
		.amdhsa_exception_fp_ieee_overflow 0
		.amdhsa_exception_fp_ieee_underflow 0
		.amdhsa_exception_fp_ieee_inexact 0
		.amdhsa_exception_int_div_zero 0
	.end_amdhsa_kernel
	.section	.text._ZN9rocsolver6v33100L16org2l_init_identI19rocblas_complex_numIfEPS3_EEviiiT0_iil,"axG",@progbits,_ZN9rocsolver6v33100L16org2l_init_identI19rocblas_complex_numIfEPS3_EEviiiT0_iil,comdat
.Lfunc_end13:
	.size	_ZN9rocsolver6v33100L16org2l_init_identI19rocblas_complex_numIfEPS3_EEviiiT0_iil, .Lfunc_end13-_ZN9rocsolver6v33100L16org2l_init_identI19rocblas_complex_numIfEPS3_EEviiiT0_iil
                                        ; -- End function
	.set _ZN9rocsolver6v33100L16org2l_init_identI19rocblas_complex_numIfEPS3_EEviiiT0_iil.num_vgpr, 4
	.set _ZN9rocsolver6v33100L16org2l_init_identI19rocblas_complex_numIfEPS3_EEviiiT0_iil.num_agpr, 0
	.set _ZN9rocsolver6v33100L16org2l_init_identI19rocblas_complex_numIfEPS3_EEviiiT0_iil.numbered_sgpr, 16
	.set _ZN9rocsolver6v33100L16org2l_init_identI19rocblas_complex_numIfEPS3_EEviiiT0_iil.num_named_barrier, 0
	.set _ZN9rocsolver6v33100L16org2l_init_identI19rocblas_complex_numIfEPS3_EEviiiT0_iil.private_seg_size, 0
	.set _ZN9rocsolver6v33100L16org2l_init_identI19rocblas_complex_numIfEPS3_EEviiiT0_iil.uses_vcc, 1
	.set _ZN9rocsolver6v33100L16org2l_init_identI19rocblas_complex_numIfEPS3_EEviiiT0_iil.uses_flat_scratch, 0
	.set _ZN9rocsolver6v33100L16org2l_init_identI19rocblas_complex_numIfEPS3_EEviiiT0_iil.has_dyn_sized_stack, 0
	.set _ZN9rocsolver6v33100L16org2l_init_identI19rocblas_complex_numIfEPS3_EEviiiT0_iil.has_recursion, 0
	.set _ZN9rocsolver6v33100L16org2l_init_identI19rocblas_complex_numIfEPS3_EEviiiT0_iil.has_indirect_call, 0
	.section	.AMDGPU.csdata,"",@progbits
; Kernel info:
; codeLenInByte = 384
; TotalNumSgprs: 18
; NumVgprs: 4
; ScratchSize: 0
; MemoryBound: 0
; FloatMode: 240
; IeeeMode: 1
; LDSByteSize: 0 bytes/workgroup (compile time only)
; SGPRBlocks: 0
; VGPRBlocks: 0
; NumSGPRsForWavesPerEU: 18
; NumVGPRsForWavesPerEU: 4
; Occupancy: 16
; WaveLimiterHint : 0
; COMPUTE_PGM_RSRC2:SCRATCH_EN: 0
; COMPUTE_PGM_RSRC2:USER_SGPR: 6
; COMPUTE_PGM_RSRC2:TRAP_HANDLER: 0
; COMPUTE_PGM_RSRC2:TGID_X_EN: 1
; COMPUTE_PGM_RSRC2:TGID_Y_EN: 1
; COMPUTE_PGM_RSRC2:TGID_Z_EN: 1
; COMPUTE_PGM_RSRC2:TIDIG_COMP_CNT: 1
	.section	.text._ZN9rocsolver6v33100L16larf_left_kernelILi1024E19rocblas_complex_numIfEiPS3_EEvT1_S5_T2_lS5_lPKT0_lS6_lS5_l,"axG",@progbits,_ZN9rocsolver6v33100L16larf_left_kernelILi1024E19rocblas_complex_numIfEiPS3_EEvT1_S5_T2_lS5_lPKT0_lS6_lS5_l,comdat
	.globl	_ZN9rocsolver6v33100L16larf_left_kernelILi1024E19rocblas_complex_numIfEiPS3_EEvT1_S5_T2_lS5_lPKT0_lS6_lS5_l ; -- Begin function _ZN9rocsolver6v33100L16larf_left_kernelILi1024E19rocblas_complex_numIfEiPS3_EEvT1_S5_T2_lS5_lPKT0_lS6_lS5_l
	.p2align	8
	.type	_ZN9rocsolver6v33100L16larf_left_kernelILi1024E19rocblas_complex_numIfEiPS3_EEvT1_S5_T2_lS5_lPKT0_lS6_lS5_l,@function
_ZN9rocsolver6v33100L16larf_left_kernelILi1024E19rocblas_complex_numIfEiPS3_EEvT1_S5_T2_lS5_lPKT0_lS6_lS5_l: ; @_ZN9rocsolver6v33100L16larf_left_kernelILi1024E19rocblas_complex_numIfEiPS3_EEvT1_S5_T2_lS5_lPKT0_lS6_lS5_l
; %bb.0:
	s_clause 0x4
	s_load_dword s9, s[4:5], 0x0
	s_load_dwordx2 s[0:1], s[4:5], 0x50
	s_load_dword s2, s[4:5], 0x48
	s_load_dwordx2 s[10:11], s[4:5], 0x40
	s_load_dwordx8 s[12:19], s[4:5], 0x20
	v_mov_b32_e32 v5, 0
	v_lshlrev_b32_e32 v3, 3, v0
	v_mov_b32_e32 v6, 0
	s_ashr_i32 s25, s8, 31
	s_waitcnt lgkmcnt(0)
	v_cmp_gt_i32_e32 vcc_lo, s9, v0
	s_mul_i32 s22, s0, s25
	s_mul_hi_u32 s23, s0, s8
	s_mul_i32 s24, s1, s8
	s_mul_i32 s6, s0, s8
	s_mul_hi_i32 s21, s7, s2
	s_mul_i32 s20, s7, s2
	s_and_saveexec_b32 s26, vcc_lo
	s_cbranch_execz .LBB14_6
; %bb.1:
	s_clause 0x1
	s_load_dword s28, s[4:5], 0x18
	s_load_dwordx4 s[0:3], s[4:5], 0x8
	s_sub_i32 s5, 1, s9
	s_mul_i32 s7, s12, s25
	s_mul_hi_u32 s30, s12, s8
	s_mul_i32 s4, s12, s8
	s_mul_i32 s31, s13, s8
	v_add3_u32 v4, v3, 0, 0x100
	v_mov_b32_e32 v6, v0
	v_mov_b32_e32 v5, v4
	s_waitcnt lgkmcnt(0)
	s_ashr_i32 s29, s28, 31
	v_mad_i64_i32 v[1:2], null, s28, v0, 0
	v_cmp_lt_i64_e64 s27, s[28:29], 1
	s_mul_i32 s5, s28, s5
	s_and_b32 s12, s27, exec_lo
	s_cselect_b32 s12, s5, 0
	s_add_i32 s5, s30, s7
	s_ashr_i32 s13, s12, 31
	s_add_i32 s5, s5, s31
	s_lshl_b64 s[12:13], s[12:13], 3
	s_lshl_b64 s[2:3], s[2:3], 3
	;; [unrolled: 1-line block ×3, first 2 shown]
	v_lshlrev_b64 v[1:2], 3, v[1:2]
	s_add_u32 s0, s0, s12
	s_addc_u32 s1, s1, s13
	s_add_u32 s0, s0, s2
	s_addc_u32 s1, s1, s3
	;; [unrolled: 2-line block ×3, first 2 shown]
	v_add_co_u32 v1, s0, s0, v1
	v_add_co_ci_u32_e64 v2, null, s1, v2, s0
	s_mov_b32 s4, 0
	s_lshl_b64 s[2:3], s[28:29], 13
	.p2align	6
.LBB14_2:                               ; =>This Inner Loop Header: Depth=1
	global_load_dwordx2 v[7:8], v[1:2], off
	v_add_nc_u32_e32 v6, 0x400, v6
	v_add_co_u32 v1, s0, v1, s2
	v_add_co_ci_u32_e64 v2, null, s3, v2, s0
	v_cmp_le_i32_e64 s1, s9, v6
	s_or_b32 s4, s1, s4
	s_waitcnt vmcnt(0)
	ds_write_b64 v5, v[7:8]
	v_add_nc_u32_e32 v5, 0x2000, v5
	s_andn2_b32 exec_lo, exec_lo, s4
	s_cbranch_execnz .LBB14_2
; %bb.3:
	s_or_b32 exec_lo, exec_lo, s4
	s_add_i32 s0, s23, s22
	v_lshlrev_b32_e32 v1, 3, v0
	s_add_i32 s7, s0, s24
	s_lshl_b64 s[0:1], s[20:21], 3
	s_lshl_b64 s[2:3], s[6:7], 3
	v_mov_b32_e32 v5, 0
	s_add_u32 s2, s2, s0
	s_addc_u32 s3, s3, s1
	s_lshl_b64 s[0:1], s[10:11], 3
	v_mov_b32_e32 v7, v0
	s_add_u32 s0, s2, s0
	s_addc_u32 s1, s3, s1
	s_add_u32 s0, s18, s0
	s_addc_u32 s1, s19, s1
	v_add_co_u32 v1, s0, s0, v1
	v_add_co_ci_u32_e64 v2, null, s1, 0, s0
	v_mov_b32_e32 v6, 0
	v_add_co_u32 v1, s0, v1, 4
	v_add_co_ci_u32_e64 v2, null, 0, v2, s0
	s_mov_b32 s2, 0
	.p2align	6
.LBB14_4:                               ; =>This Inner Loop Header: Depth=1
	global_load_dwordx2 v[8:9], v[1:2], off offset:-4
	ds_read_b64 v[10:11], v4
	v_add_nc_u32_e32 v7, 0x400, v7
	v_add_co_u32 v1, s0, 0x2000, v1
	v_add_nc_u32_e32 v4, 0x2000, v4
	v_add_co_ci_u32_e64 v2, null, 0, v2, s0
	v_cmp_le_i32_e64 s1, s9, v7
	s_or_b32 s2, s1, s2
	s_waitcnt vmcnt(0) lgkmcnt(0)
	v_mul_f32_e32 v12, v9, v11
	v_mul_f32_e32 v9, v9, v10
	v_fmac_f32_e32 v12, v8, v10
	v_fma_f32 v8, v8, v11, -v9
	v_add_f32_e32 v6, v6, v12
	v_add_f32_e32 v5, v5, v8
	s_andn2_b32 exec_lo, exec_lo, s2
	s_cbranch_execnz .LBB14_4
; %bb.5:
	s_or_b32 exec_lo, exec_lo, s2
.LBB14_6:
	s_or_b32 exec_lo, exec_lo, s26
	v_mbcnt_lo_u32_b32 v1, -1, 0
	s_mov_b32 s1, exec_lo
	v_cmp_ne_u32_e64 s0, 31, v1
	v_add_co_ci_u32_e64 v2, null, 0, v1, s0
	v_cmp_gt_u32_e64 s0, 30, v1
	v_lshlrev_b32_e32 v2, 2, v2
	v_cndmask_b32_e64 v7, 0, 2, s0
	v_cmp_gt_u32_e64 s0, 28, v1
	ds_bpermute_b32 v4, v2, v6
	ds_bpermute_b32 v2, v2, v5
	v_add_lshl_u32 v7, v7, v1, 2
	s_waitcnt lgkmcnt(1)
	v_add_f32_e32 v4, v6, v4
	s_waitcnt lgkmcnt(0)
	v_add_f32_e32 v2, v5, v2
	ds_bpermute_b32 v5, v7, v4
	ds_bpermute_b32 v6, v7, v2
	v_cndmask_b32_e64 v7, 0, 4, s0
	v_cmp_gt_u32_e64 s0, 24, v1
	v_add_lshl_u32 v7, v7, v1, 2
	s_waitcnt lgkmcnt(1)
	v_add_f32_e32 v4, v4, v5
	s_waitcnt lgkmcnt(0)
	v_add_f32_e32 v2, v2, v6
	ds_bpermute_b32 v5, v7, v4
	ds_bpermute_b32 v6, v7, v2
	v_cndmask_b32_e64 v7, 0, 8, s0
	v_add_lshl_u32 v7, v7, v1, 2
	v_lshl_or_b32 v1, v1, 2, 64
	s_waitcnt lgkmcnt(1)
	v_add_f32_e32 v4, v4, v5
	s_waitcnt lgkmcnt(0)
	v_add_f32_e32 v2, v2, v6
	ds_bpermute_b32 v5, v7, v4
	ds_bpermute_b32 v6, v7, v2
	v_and_b32_e32 v7, 31, v0
	s_waitcnt lgkmcnt(1)
	v_add_f32_e32 v4, v4, v5
	s_waitcnt lgkmcnt(0)
	v_add_f32_e32 v2, v2, v6
	ds_bpermute_b32 v5, v1, v4
	ds_bpermute_b32 v6, v1, v2
	s_waitcnt lgkmcnt(1)
	v_add_f32_e32 v1, v4, v5
	s_waitcnt lgkmcnt(0)
	v_add_f32_e32 v2, v2, v6
	v_cmpx_eq_u32_e32 0, v7
; %bb.7:
	v_lshrrev_b32_e32 v4, 2, v0
	v_add_nc_u32_e32 v4, 0, v4
	ds_write2_b32 v4, v1, v2 offset1:1
; %bb.8:
	s_or_b32 exec_lo, exec_lo, s1
	s_mov_b32 s1, exec_lo
	s_waitcnt lgkmcnt(0)
	s_barrier
	buffer_gl0_inv
	v_cmpx_eq_u32_e32 0, v0
	s_cbranch_execz .LBB14_10
; %bb.9:
	v_mov_b32_e32 v16, 0
	ds_read2_b64 v[4:7], v16 offset0:1 offset1:2
	ds_read2_b64 v[8:11], v16 offset0:3 offset1:4
	;; [unrolled: 1-line block ×3, first 2 shown]
	s_waitcnt lgkmcnt(2)
	v_add_f32_e32 v1, v1, v4
	v_add_f32_e32 v2, v2, v5
	v_add_f32_e32 v1, v1, v6
	v_add_f32_e32 v2, v2, v7
	ds_read2_b64 v[4:7], v16 offset0:7 offset1:8
	s_waitcnt lgkmcnt(2)
	v_add_f32_e32 v1, v1, v8
	v_add_f32_e32 v2, v2, v9
	v_add_f32_e32 v1, v1, v10
	v_add_f32_e32 v2, v2, v11
	ds_read2_b64 v[8:11], v16 offset0:9 offset1:10
	s_waitcnt lgkmcnt(2)
	v_add_f32_e32 v1, v1, v12
	v_add_f32_e32 v2, v2, v13
	v_add_f32_e32 v1, v1, v14
	v_add_f32_e32 v2, v2, v15
	ds_read2_b64 v[12:15], v16 offset0:11 offset1:12
	s_waitcnt lgkmcnt(2)
	v_add_f32_e32 v1, v1, v4
	v_add_f32_e32 v2, v2, v5
	v_add_f32_e32 v1, v1, v6
	v_add_f32_e32 v2, v2, v7
	ds_read2_b64 v[4:7], v16 offset0:13 offset1:14
	s_waitcnt lgkmcnt(2)
	v_add_f32_e32 v1, v1, v8
	v_add_f32_e32 v2, v2, v9
	v_add_f32_e32 v1, v1, v10
	v_add_f32_e32 v2, v2, v11
	ds_read2_b64 v[8:11], v16 offset0:15 offset1:16
	s_waitcnt lgkmcnt(2)
	v_add_f32_e32 v1, v1, v12
	v_add_f32_e32 v2, v2, v13
	v_add_f32_e32 v1, v1, v14
	v_add_f32_e32 v2, v2, v15
	ds_read2_b64 v[12:15], v16 offset0:17 offset1:18
	s_waitcnt lgkmcnt(2)
	v_add_f32_e32 v1, v1, v4
	v_add_f32_e32 v2, v2, v5
	v_add_f32_e32 v1, v1, v6
	v_add_f32_e32 v2, v2, v7
	ds_read2_b64 v[4:7], v16 offset0:19 offset1:20
	s_waitcnt lgkmcnt(2)
	v_add_f32_e32 v1, v1, v8
	v_add_f32_e32 v2, v2, v9
	v_add_f32_e32 v1, v1, v10
	v_add_f32_e32 v2, v2, v11
	ds_read2_b64 v[8:11], v16 offset0:21 offset1:22
	s_waitcnt lgkmcnt(2)
	v_add_f32_e32 v1, v1, v12
	v_add_f32_e32 v2, v2, v13
	v_add_f32_e32 v1, v1, v14
	v_add_f32_e32 v2, v2, v15
	ds_read2_b64 v[12:15], v16 offset0:23 offset1:24
	s_waitcnt lgkmcnt(2)
	v_add_f32_e32 v1, v1, v4
	v_add_f32_e32 v2, v2, v5
	v_add_f32_e32 v1, v1, v6
	v_add_f32_e32 v2, v2, v7
	ds_read2_b64 v[4:7], v16 offset0:25 offset1:26
	s_waitcnt lgkmcnt(2)
	v_add_f32_e32 v1, v1, v8
	v_add_f32_e32 v2, v2, v9
	v_add_f32_e32 v1, v1, v10
	v_add_f32_e32 v2, v2, v11
	ds_read2_b64 v[8:11], v16 offset0:27 offset1:28
	s_waitcnt lgkmcnt(2)
	v_add_f32_e32 v1, v1, v12
	v_add_f32_e32 v2, v2, v13
	v_add_f32_e32 v1, v1, v14
	v_add_f32_e32 v2, v2, v15
	ds_read2_b64 v[12:15], v16 offset0:29 offset1:30
	s_waitcnt lgkmcnt(2)
	v_add_f32_e32 v1, v1, v4
	v_add_f32_e32 v2, v2, v5
	;; [unrolled: 1-line block ×4, first 2 shown]
	ds_read_b64 v[1:2], v16 offset:248
	s_waitcnt lgkmcnt(2)
	v_add_f32_e32 v4, v4, v8
	v_add_f32_e32 v5, v5, v9
	;; [unrolled: 1-line block ×4, first 2 shown]
	s_waitcnt lgkmcnt(1)
	v_add_f32_e32 v4, v4, v12
	v_add_f32_e32 v5, v5, v13
	;; [unrolled: 1-line block ×4, first 2 shown]
	s_waitcnt lgkmcnt(0)
	v_add_f32_e32 v1, v4, v1
	v_add_f32_e32 v2, v5, v2
	ds_write_b64 v16, v[1:2]
.LBB14_10:
	s_or_b32 exec_lo, exec_lo, s1
	s_waitcnt lgkmcnt(0)
	s_barrier
	buffer_gl0_inv
	s_and_saveexec_b32 s0, vcc_lo
	s_cbranch_execz .LBB14_13
; %bb.11:
	s_mul_i32 s0, s16, s25
	s_mul_hi_u32 s1, s16, s8
	s_mul_i32 s2, s17, s8
	s_add_i32 s0, s1, s0
	v_mov_b32_e32 v1, 0
	s_add_i32 s1, s0, s2
	s_mul_i32 s0, s16, s8
	v_add3_u32 v4, v3, 0, 0x100
	s_lshl_b64 s[0:1], s[0:1], 3
	ds_read_b64 v[1:2], v1
	s_add_u32 s0, s14, s0
	s_addc_u32 s1, s15, s1
	s_add_i32 s2, s23, s22
	s_load_dwordx2 s[0:1], s[0:1], 0x0
	s_add_i32 s7, s2, s24
	s_lshl_b64 s[2:3], s[20:21], 3
	s_lshl_b64 s[4:5], s[6:7], 3
	s_add_u32 s4, s4, s2
	s_addc_u32 s5, s5, s3
	s_lshl_b64 s[2:3], s[10:11], 3
	s_add_u32 s2, s4, s2
	s_addc_u32 s3, s5, s3
	s_add_u32 s2, s18, s2
	s_addc_u32 s3, s19, s3
	s_waitcnt lgkmcnt(0)
	v_mul_f32_e32 v5, s1, v2
	v_mul_f32_e32 v6, s1, v1
	v_add_co_u32 v7, s1, s2, v3
	v_add_co_ci_u32_e64 v8, null, s3, 0, s1
	v_fma_f32 v3, v1, -s0, -v5
	v_add_co_u32 v1, vcc_lo, v7, 4
	v_fma_f32 v5, s0, v2, -v6
	v_add_co_ci_u32_e64 v2, null, 0, v8, vcc_lo
	s_mov_b32 s1, 0
	.p2align	6
.LBB14_12:                              ; =>This Inner Loop Header: Depth=1
	global_load_dwordx2 v[6:7], v[1:2], off offset:-4
	ds_read_b64 v[8:9], v4
	v_add_nc_u32_e32 v0, 0x400, v0
	v_add_nc_u32_e32 v4, 0x2000, v4
	v_cmp_le_i32_e32 vcc_lo, s9, v0
	s_or_b32 s1, vcc_lo, s1
	s_waitcnt lgkmcnt(0)
	v_mul_f32_e32 v10, v5, v9
	v_mul_f32_e32 v9, v3, v9
	v_fma_f32 v10, v3, v8, -v10
	v_fmac_f32_e32 v9, v5, v8
	s_waitcnt vmcnt(0)
	v_add_f32_e32 v6, v6, v10
	v_add_f32_e32 v7, v9, v7
	global_store_dwordx2 v[1:2], v[6:7], off offset:-4
	v_add_co_u32 v1, s0, 0x2000, v1
	v_add_co_ci_u32_e64 v2, null, 0, v2, s0
	s_andn2_b32 exec_lo, exec_lo, s1
	s_cbranch_execnz .LBB14_12
.LBB14_13:
	s_endpgm
	.section	.rodata,"a",@progbits
	.p2align	6, 0x0
	.amdhsa_kernel _ZN9rocsolver6v33100L16larf_left_kernelILi1024E19rocblas_complex_numIfEiPS3_EEvT1_S5_T2_lS5_lPKT0_lS6_lS5_l
		.amdhsa_group_segment_fixed_size 0
		.amdhsa_private_segment_fixed_size 0
		.amdhsa_kernarg_size 88
		.amdhsa_user_sgpr_count 6
		.amdhsa_user_sgpr_private_segment_buffer 1
		.amdhsa_user_sgpr_dispatch_ptr 0
		.amdhsa_user_sgpr_queue_ptr 0
		.amdhsa_user_sgpr_kernarg_segment_ptr 1
		.amdhsa_user_sgpr_dispatch_id 0
		.amdhsa_user_sgpr_flat_scratch_init 0
		.amdhsa_user_sgpr_private_segment_size 0
		.amdhsa_wavefront_size32 1
		.amdhsa_uses_dynamic_stack 0
		.amdhsa_system_sgpr_private_segment_wavefront_offset 0
		.amdhsa_system_sgpr_workgroup_id_x 1
		.amdhsa_system_sgpr_workgroup_id_y 1
		.amdhsa_system_sgpr_workgroup_id_z 1
		.amdhsa_system_sgpr_workgroup_info 0
		.amdhsa_system_vgpr_workitem_id 0
		.amdhsa_next_free_vgpr 17
		.amdhsa_next_free_sgpr 32
		.amdhsa_reserve_vcc 1
		.amdhsa_reserve_flat_scratch 0
		.amdhsa_float_round_mode_32 0
		.amdhsa_float_round_mode_16_64 0
		.amdhsa_float_denorm_mode_32 3
		.amdhsa_float_denorm_mode_16_64 3
		.amdhsa_dx10_clamp 1
		.amdhsa_ieee_mode 1
		.amdhsa_fp16_overflow 0
		.amdhsa_workgroup_processor_mode 1
		.amdhsa_memory_ordered 1
		.amdhsa_forward_progress 1
		.amdhsa_shared_vgpr_count 0
		.amdhsa_exception_fp_ieee_invalid_op 0
		.amdhsa_exception_fp_denorm_src 0
		.amdhsa_exception_fp_ieee_div_zero 0
		.amdhsa_exception_fp_ieee_overflow 0
		.amdhsa_exception_fp_ieee_underflow 0
		.amdhsa_exception_fp_ieee_inexact 0
		.amdhsa_exception_int_div_zero 0
	.end_amdhsa_kernel
	.section	.text._ZN9rocsolver6v33100L16larf_left_kernelILi1024E19rocblas_complex_numIfEiPS3_EEvT1_S5_T2_lS5_lPKT0_lS6_lS5_l,"axG",@progbits,_ZN9rocsolver6v33100L16larf_left_kernelILi1024E19rocblas_complex_numIfEiPS3_EEvT1_S5_T2_lS5_lPKT0_lS6_lS5_l,comdat
.Lfunc_end14:
	.size	_ZN9rocsolver6v33100L16larf_left_kernelILi1024E19rocblas_complex_numIfEiPS3_EEvT1_S5_T2_lS5_lPKT0_lS6_lS5_l, .Lfunc_end14-_ZN9rocsolver6v33100L16larf_left_kernelILi1024E19rocblas_complex_numIfEiPS3_EEvT1_S5_T2_lS5_lPKT0_lS6_lS5_l
                                        ; -- End function
	.set _ZN9rocsolver6v33100L16larf_left_kernelILi1024E19rocblas_complex_numIfEiPS3_EEvT1_S5_T2_lS5_lPKT0_lS6_lS5_l.num_vgpr, 17
	.set _ZN9rocsolver6v33100L16larf_left_kernelILi1024E19rocblas_complex_numIfEiPS3_EEvT1_S5_T2_lS5_lPKT0_lS6_lS5_l.num_agpr, 0
	.set _ZN9rocsolver6v33100L16larf_left_kernelILi1024E19rocblas_complex_numIfEiPS3_EEvT1_S5_T2_lS5_lPKT0_lS6_lS5_l.numbered_sgpr, 32
	.set _ZN9rocsolver6v33100L16larf_left_kernelILi1024E19rocblas_complex_numIfEiPS3_EEvT1_S5_T2_lS5_lPKT0_lS6_lS5_l.num_named_barrier, 0
	.set _ZN9rocsolver6v33100L16larf_left_kernelILi1024E19rocblas_complex_numIfEiPS3_EEvT1_S5_T2_lS5_lPKT0_lS6_lS5_l.private_seg_size, 0
	.set _ZN9rocsolver6v33100L16larf_left_kernelILi1024E19rocblas_complex_numIfEiPS3_EEvT1_S5_T2_lS5_lPKT0_lS6_lS5_l.uses_vcc, 1
	.set _ZN9rocsolver6v33100L16larf_left_kernelILi1024E19rocblas_complex_numIfEiPS3_EEvT1_S5_T2_lS5_lPKT0_lS6_lS5_l.uses_flat_scratch, 0
	.set _ZN9rocsolver6v33100L16larf_left_kernelILi1024E19rocblas_complex_numIfEiPS3_EEvT1_S5_T2_lS5_lPKT0_lS6_lS5_l.has_dyn_sized_stack, 0
	.set _ZN9rocsolver6v33100L16larf_left_kernelILi1024E19rocblas_complex_numIfEiPS3_EEvT1_S5_T2_lS5_lPKT0_lS6_lS5_l.has_recursion, 0
	.set _ZN9rocsolver6v33100L16larf_left_kernelILi1024E19rocblas_complex_numIfEiPS3_EEvT1_S5_T2_lS5_lPKT0_lS6_lS5_l.has_indirect_call, 0
	.section	.AMDGPU.csdata,"",@progbits
; Kernel info:
; codeLenInByte = 1780
; TotalNumSgprs: 34
; NumVgprs: 17
; ScratchSize: 0
; MemoryBound: 0
; FloatMode: 240
; IeeeMode: 1
; LDSByteSize: 0 bytes/workgroup (compile time only)
; SGPRBlocks: 0
; VGPRBlocks: 2
; NumSGPRsForWavesPerEU: 34
; NumVGPRsForWavesPerEU: 17
; Occupancy: 16
; WaveLimiterHint : 0
; COMPUTE_PGM_RSRC2:SCRATCH_EN: 0
; COMPUTE_PGM_RSRC2:USER_SGPR: 6
; COMPUTE_PGM_RSRC2:TRAP_HANDLER: 0
; COMPUTE_PGM_RSRC2:TGID_X_EN: 1
; COMPUTE_PGM_RSRC2:TGID_Y_EN: 1
; COMPUTE_PGM_RSRC2:TGID_Z_EN: 1
; COMPUTE_PGM_RSRC2:TIDIG_COMP_CNT: 0
	.section	.text._ZN9rocsolver6v33100L17larf_right_kernelILi1024E19rocblas_complex_numIfEiPS3_EEvT1_S5_T2_lS5_lPKT0_lS6_lS5_l,"axG",@progbits,_ZN9rocsolver6v33100L17larf_right_kernelILi1024E19rocblas_complex_numIfEiPS3_EEvT1_S5_T2_lS5_lPKT0_lS6_lS5_l,comdat
	.globl	_ZN9rocsolver6v33100L17larf_right_kernelILi1024E19rocblas_complex_numIfEiPS3_EEvT1_S5_T2_lS5_lPKT0_lS6_lS5_l ; -- Begin function _ZN9rocsolver6v33100L17larf_right_kernelILi1024E19rocblas_complex_numIfEiPS3_EEvT1_S5_T2_lS5_lPKT0_lS6_lS5_l
	.p2align	8
	.type	_ZN9rocsolver6v33100L17larf_right_kernelILi1024E19rocblas_complex_numIfEiPS3_EEvT1_S5_T2_lS5_lPKT0_lS6_lS5_l,@function
_ZN9rocsolver6v33100L17larf_right_kernelILi1024E19rocblas_complex_numIfEiPS3_EEvT1_S5_T2_lS5_lPKT0_lS6_lS5_l: ; @_ZN9rocsolver6v33100L17larf_right_kernelILi1024E19rocblas_complex_numIfEiPS3_EEvT1_S5_T2_lS5_lPKT0_lS6_lS5_l
; %bb.0:
	s_clause 0x4
	s_load_dword s9, s[4:5], 0x4
	s_load_dwordx2 s[0:1], s[4:5], 0x50
	s_load_dwordx2 s[20:21], s[4:5], 0x40
	s_load_dword s6, s[4:5], 0x48
	s_load_dwordx8 s[12:19], s[4:5], 0x20
	v_mov_b32_e32 v5, 0
	v_lshlrev_b32_e32 v3, 3, v0
	v_mov_b32_e32 v6, 0
	s_ashr_i32 s27, s8, 31
	s_mov_b32 s10, s7
	s_ashr_i32 s11, s7, 31
	s_waitcnt lgkmcnt(0)
	v_cmp_gt_i32_e32 vcc_lo, s9, v0
	s_mul_i32 s24, s0, s27
	s_mul_hi_u32 s26, s0, s8
	s_mul_i32 s25, s1, s8
	s_mul_i32 s22, s0, s8
	s_and_saveexec_b32 s28, vcc_lo
	s_cbranch_execz .LBB15_6
; %bb.1:
	s_clause 0x1
	s_load_dword s30, s[4:5], 0x18
	s_load_dwordx4 s[0:3], s[4:5], 0x8
	s_sub_i32 s5, 1, s9
	s_mul_i32 s7, s12, s27
	s_mul_hi_u32 s29, s12, s8
	s_mul_i32 s4, s12, s8
	s_mul_i32 s33, s13, s8
	v_add3_u32 v4, v3, 0, 0x100
	v_mov_b32_e32 v6, v0
	v_mov_b32_e32 v5, v4
	s_waitcnt lgkmcnt(0)
	s_ashr_i32 s31, s30, 31
	v_mad_i64_i32 v[1:2], null, s30, v0, 0
	v_cmp_lt_i64_e64 s23, s[30:31], 1
	s_mul_i32 s5, s30, s5
	s_and_b32 s12, s23, exec_lo
	s_cselect_b32 s12, s5, 0
	s_add_i32 s5, s29, s7
	s_ashr_i32 s13, s12, 31
	s_add_i32 s5, s5, s33
	s_lshl_b64 s[12:13], s[12:13], 3
	s_lshl_b64 s[2:3], s[2:3], 3
	s_lshl_b64 s[4:5], s[4:5], 3
	v_lshlrev_b64 v[1:2], 3, v[1:2]
	s_add_u32 s0, s0, s12
	s_addc_u32 s1, s1, s13
	s_add_u32 s0, s0, s2
	s_addc_u32 s1, s1, s3
	;; [unrolled: 2-line block ×3, first 2 shown]
	v_add_co_u32 v1, s0, s0, v1
	v_add_co_ci_u32_e64 v2, null, s1, v2, s0
	s_mov_b32 s4, 0
	s_lshl_b64 s[2:3], s[30:31], 13
	.p2align	6
.LBB15_2:                               ; =>This Inner Loop Header: Depth=1
	global_load_dwordx2 v[7:8], v[1:2], off
	v_add_nc_u32_e32 v6, 0x400, v6
	v_add_co_u32 v1, s0, v1, s2
	v_add_co_ci_u32_e64 v2, null, s3, v2, s0
	v_cmp_le_i32_e64 s1, s9, v6
	s_or_b32 s4, s1, s4
	s_waitcnt vmcnt(0)
	ds_write_b64 v5, v[7:8]
	v_add_nc_u32_e32 v5, 0x2000, v5
	s_andn2_b32 exec_lo, exec_lo, s4
	s_cbranch_execnz .LBB15_2
; %bb.3:
	s_or_b32 exec_lo, exec_lo, s4
	v_mad_i64_i32 v[1:2], null, s6, v0, 0
	s_add_i32 s2, s26, s24
	s_ashr_i32 s7, s6, 31
	s_add_i32 s23, s2, s25
	s_lshl_b64 s[2:3], s[10:11], 3
	s_lshl_b64 s[0:1], s[20:21], 3
	;; [unrolled: 1-line block ×3, first 2 shown]
	v_lshlrev_b64 v[1:2], 3, v[1:2]
	s_add_u32 s2, s18, s2
	s_addc_u32 s3, s19, s3
	s_add_u32 s0, s2, s0
	s_addc_u32 s1, s3, s1
	;; [unrolled: 2-line block ×3, first 2 shown]
	v_add_co_u32 v1, s0, s0, v1
	v_add_co_ci_u32_e64 v2, null, s1, v2, s0
	v_mov_b32_e32 v5, 0
	v_mov_b32_e32 v7, v0
	;; [unrolled: 1-line block ×3, first 2 shown]
	s_lshl_b64 s[2:3], s[6:7], 13
	s_mov_b32 s4, 0
	.p2align	6
.LBB15_4:                               ; =>This Inner Loop Header: Depth=1
	global_load_dwordx2 v[8:9], v[1:2], off
	ds_read_b64 v[10:11], v4
	v_add_nc_u32_e32 v7, 0x400, v7
	v_add_co_u32 v1, s0, v1, s2
	v_add_nc_u32_e32 v4, 0x2000, v4
	v_add_co_ci_u32_e64 v2, null, s3, v2, s0
	v_cmp_le_i32_e64 s1, s9, v7
	s_or_b32 s4, s1, s4
	s_waitcnt vmcnt(0) lgkmcnt(0)
	v_mul_f32_e32 v12, v11, v9
	v_mul_f32_e32 v9, v10, v9
	v_fma_f32 v10, v10, v8, -v12
	v_fmac_f32_e32 v9, v11, v8
	v_add_f32_e32 v6, v6, v10
	v_add_f32_e32 v5, v5, v9
	s_andn2_b32 exec_lo, exec_lo, s4
	s_cbranch_execnz .LBB15_4
; %bb.5:
	s_or_b32 exec_lo, exec_lo, s4
.LBB15_6:
	s_or_b32 exec_lo, exec_lo, s28
	v_mbcnt_lo_u32_b32 v1, -1, 0
	s_mov_b32 s1, exec_lo
	v_cmp_ne_u32_e64 s0, 31, v1
	v_add_co_ci_u32_e64 v2, null, 0, v1, s0
	v_cmp_gt_u32_e64 s0, 30, v1
	v_lshlrev_b32_e32 v2, 2, v2
	v_cndmask_b32_e64 v7, 0, 2, s0
	v_cmp_gt_u32_e64 s0, 28, v1
	ds_bpermute_b32 v4, v2, v6
	ds_bpermute_b32 v2, v2, v5
	v_add_lshl_u32 v7, v7, v1, 2
	s_waitcnt lgkmcnt(1)
	v_add_f32_e32 v4, v6, v4
	s_waitcnt lgkmcnt(0)
	v_add_f32_e32 v2, v5, v2
	ds_bpermute_b32 v5, v7, v4
	ds_bpermute_b32 v6, v7, v2
	v_cndmask_b32_e64 v7, 0, 4, s0
	v_cmp_gt_u32_e64 s0, 24, v1
	v_add_lshl_u32 v7, v7, v1, 2
	s_waitcnt lgkmcnt(1)
	v_add_f32_e32 v4, v4, v5
	s_waitcnt lgkmcnt(0)
	v_add_f32_e32 v2, v2, v6
	ds_bpermute_b32 v5, v7, v4
	ds_bpermute_b32 v6, v7, v2
	v_cndmask_b32_e64 v7, 0, 8, s0
	v_add_lshl_u32 v7, v7, v1, 2
	v_lshl_or_b32 v1, v1, 2, 64
	s_waitcnt lgkmcnt(1)
	v_add_f32_e32 v4, v4, v5
	s_waitcnt lgkmcnt(0)
	v_add_f32_e32 v2, v2, v6
	ds_bpermute_b32 v5, v7, v4
	ds_bpermute_b32 v6, v7, v2
	v_and_b32_e32 v7, 31, v0
	s_waitcnt lgkmcnt(1)
	v_add_f32_e32 v4, v4, v5
	s_waitcnt lgkmcnt(0)
	v_add_f32_e32 v2, v2, v6
	ds_bpermute_b32 v5, v1, v4
	ds_bpermute_b32 v6, v1, v2
	s_waitcnt lgkmcnt(1)
	v_add_f32_e32 v1, v4, v5
	s_waitcnt lgkmcnt(0)
	v_add_f32_e32 v2, v2, v6
	v_cmpx_eq_u32_e32 0, v7
; %bb.7:
	v_lshrrev_b32_e32 v4, 2, v0
	v_add_nc_u32_e32 v4, 0, v4
	ds_write2_b32 v4, v1, v2 offset1:1
; %bb.8:
	s_or_b32 exec_lo, exec_lo, s1
	s_mov_b32 s1, exec_lo
	s_waitcnt lgkmcnt(0)
	s_barrier
	buffer_gl0_inv
	v_cmpx_eq_u32_e32 0, v0
	s_cbranch_execz .LBB15_10
; %bb.9:
	v_mov_b32_e32 v16, 0
	ds_read2_b64 v[4:7], v16 offset0:1 offset1:2
	ds_read2_b64 v[8:11], v16 offset0:3 offset1:4
	;; [unrolled: 1-line block ×3, first 2 shown]
	s_waitcnt lgkmcnt(2)
	v_add_f32_e32 v1, v1, v4
	v_add_f32_e32 v2, v2, v5
	v_add_f32_e32 v1, v1, v6
	v_add_f32_e32 v2, v2, v7
	ds_read2_b64 v[4:7], v16 offset0:7 offset1:8
	s_waitcnt lgkmcnt(2)
	v_add_f32_e32 v1, v1, v8
	v_add_f32_e32 v2, v2, v9
	v_add_f32_e32 v1, v1, v10
	v_add_f32_e32 v2, v2, v11
	ds_read2_b64 v[8:11], v16 offset0:9 offset1:10
	s_waitcnt lgkmcnt(2)
	v_add_f32_e32 v1, v1, v12
	v_add_f32_e32 v2, v2, v13
	v_add_f32_e32 v1, v1, v14
	v_add_f32_e32 v2, v2, v15
	ds_read2_b64 v[12:15], v16 offset0:11 offset1:12
	s_waitcnt lgkmcnt(2)
	v_add_f32_e32 v1, v1, v4
	v_add_f32_e32 v2, v2, v5
	v_add_f32_e32 v1, v1, v6
	v_add_f32_e32 v2, v2, v7
	ds_read2_b64 v[4:7], v16 offset0:13 offset1:14
	s_waitcnt lgkmcnt(2)
	v_add_f32_e32 v1, v1, v8
	v_add_f32_e32 v2, v2, v9
	v_add_f32_e32 v1, v1, v10
	v_add_f32_e32 v2, v2, v11
	ds_read2_b64 v[8:11], v16 offset0:15 offset1:16
	s_waitcnt lgkmcnt(2)
	v_add_f32_e32 v1, v1, v12
	v_add_f32_e32 v2, v2, v13
	v_add_f32_e32 v1, v1, v14
	v_add_f32_e32 v2, v2, v15
	ds_read2_b64 v[12:15], v16 offset0:17 offset1:18
	s_waitcnt lgkmcnt(2)
	v_add_f32_e32 v1, v1, v4
	v_add_f32_e32 v2, v2, v5
	v_add_f32_e32 v1, v1, v6
	v_add_f32_e32 v2, v2, v7
	ds_read2_b64 v[4:7], v16 offset0:19 offset1:20
	s_waitcnt lgkmcnt(2)
	v_add_f32_e32 v1, v1, v8
	v_add_f32_e32 v2, v2, v9
	v_add_f32_e32 v1, v1, v10
	v_add_f32_e32 v2, v2, v11
	ds_read2_b64 v[8:11], v16 offset0:21 offset1:22
	s_waitcnt lgkmcnt(2)
	v_add_f32_e32 v1, v1, v12
	v_add_f32_e32 v2, v2, v13
	v_add_f32_e32 v1, v1, v14
	v_add_f32_e32 v2, v2, v15
	ds_read2_b64 v[12:15], v16 offset0:23 offset1:24
	s_waitcnt lgkmcnt(2)
	v_add_f32_e32 v1, v1, v4
	v_add_f32_e32 v2, v2, v5
	v_add_f32_e32 v1, v1, v6
	v_add_f32_e32 v2, v2, v7
	ds_read2_b64 v[4:7], v16 offset0:25 offset1:26
	s_waitcnt lgkmcnt(2)
	v_add_f32_e32 v1, v1, v8
	v_add_f32_e32 v2, v2, v9
	v_add_f32_e32 v1, v1, v10
	v_add_f32_e32 v2, v2, v11
	ds_read2_b64 v[8:11], v16 offset0:27 offset1:28
	s_waitcnt lgkmcnt(2)
	v_add_f32_e32 v1, v1, v12
	v_add_f32_e32 v2, v2, v13
	v_add_f32_e32 v1, v1, v14
	v_add_f32_e32 v2, v2, v15
	ds_read2_b64 v[12:15], v16 offset0:29 offset1:30
	s_waitcnt lgkmcnt(2)
	v_add_f32_e32 v1, v1, v4
	v_add_f32_e32 v2, v2, v5
	;; [unrolled: 1-line block ×4, first 2 shown]
	ds_read_b64 v[1:2], v16 offset:248
	s_waitcnt lgkmcnt(2)
	v_add_f32_e32 v4, v4, v8
	v_add_f32_e32 v5, v5, v9
	;; [unrolled: 1-line block ×4, first 2 shown]
	s_waitcnt lgkmcnt(1)
	v_add_f32_e32 v4, v4, v12
	v_add_f32_e32 v5, v5, v13
	;; [unrolled: 1-line block ×4, first 2 shown]
	s_waitcnt lgkmcnt(0)
	v_add_f32_e32 v1, v4, v1
	v_add_f32_e32 v2, v5, v2
	ds_write_b64 v16, v[1:2]
.LBB15_10:
	s_or_b32 exec_lo, exec_lo, s1
	s_waitcnt lgkmcnt(0)
	s_barrier
	buffer_gl0_inv
	s_and_saveexec_b32 s0, vcc_lo
	s_cbranch_execz .LBB15_13
; %bb.11:
	s_mul_i32 s0, s16, s27
	s_mul_hi_u32 s1, s16, s8
	s_mul_i32 s2, s17, s8
	s_add_i32 s0, s1, s0
	v_mov_b32_e32 v1, 0
	s_add_i32 s1, s0, s2
	s_mul_i32 s0, s16, s8
	v_mad_i64_i32 v[4:5], null, s6, v0, 0
	s_lshl_b64 s[0:1], s[0:1], 3
	ds_read_b64 v[1:2], v1
	s_add_u32 s0, s14, s0
	s_addc_u32 s1, s15, s1
	s_add_i32 s4, s26, s24
	s_load_dwordx2 s[0:1], s[0:1], 0x0
	s_add_i32 s23, s4, s25
	s_lshl_b64 s[4:5], s[10:11], 3
	s_ashr_i32 s7, s6, 31
	s_lshl_b64 s[2:3], s[20:21], 3
	s_lshl_b64 s[10:11], s[22:23], 3
	v_lshlrev_b64 v[4:5], 3, v[4:5]
	s_add_u32 s4, s18, s4
	s_addc_u32 s5, s19, s5
	s_add_u32 s2, s4, s2
	s_addc_u32 s3, s5, s3
	;; [unrolled: 2-line block ×3, first 2 shown]
	v_add_co_u32 v8, vcc_lo, s2, v4
	v_add_co_ci_u32_e64 v9, null, s3, v5, vcc_lo
	v_add3_u32 v3, v3, 0, 0x100
	s_lshl_b64 s[2:3], s[6:7], 13
	s_waitcnt lgkmcnt(0)
	v_mul_f32_e32 v7, s0, v2
	v_mul_f32_e32 v6, s0, v1
	v_fma_f32 v5, v1, -s1, -v7
	v_add_co_u32 v1, vcc_lo, v8, 4
	v_fma_f32 v4, s1, v2, -v6
	v_add_co_ci_u32_e64 v2, null, 0, v9, vcc_lo
	s_mov_b32 s1, 0
	.p2align	6
.LBB15_12:                              ; =>This Inner Loop Header: Depth=1
	global_load_dwordx2 v[6:7], v[1:2], off offset:-4
	ds_read_b64 v[8:9], v3
	v_add_nc_u32_e32 v0, 0x400, v0
	v_add_nc_u32_e32 v3, 0x2000, v3
	v_cmp_le_i32_e32 vcc_lo, s9, v0
	s_or_b32 s1, vcc_lo, s1
	s_waitcnt lgkmcnt(0)
	v_mul_f32_e32 v10, v5, v9
	v_mul_f32_e32 v9, v4, v9
	v_fmac_f32_e32 v10, v4, v8
	v_fma_f32 v8, v5, v8, -v9
	s_waitcnt vmcnt(0)
	v_add_f32_e32 v6, v6, v10
	v_add_f32_e32 v7, v8, v7
	global_store_dwordx2 v[1:2], v[6:7], off offset:-4
	v_add_co_u32 v1, s0, v1, s2
	v_add_co_ci_u32_e64 v2, null, s3, v2, s0
	s_andn2_b32 exec_lo, exec_lo, s1
	s_cbranch_execnz .LBB15_12
.LBB15_13:
	s_endpgm
	.section	.rodata,"a",@progbits
	.p2align	6, 0x0
	.amdhsa_kernel _ZN9rocsolver6v33100L17larf_right_kernelILi1024E19rocblas_complex_numIfEiPS3_EEvT1_S5_T2_lS5_lPKT0_lS6_lS5_l
		.amdhsa_group_segment_fixed_size 0
		.amdhsa_private_segment_fixed_size 0
		.amdhsa_kernarg_size 88
		.amdhsa_user_sgpr_count 6
		.amdhsa_user_sgpr_private_segment_buffer 1
		.amdhsa_user_sgpr_dispatch_ptr 0
		.amdhsa_user_sgpr_queue_ptr 0
		.amdhsa_user_sgpr_kernarg_segment_ptr 1
		.amdhsa_user_sgpr_dispatch_id 0
		.amdhsa_user_sgpr_flat_scratch_init 0
		.amdhsa_user_sgpr_private_segment_size 0
		.amdhsa_wavefront_size32 1
		.amdhsa_uses_dynamic_stack 0
		.amdhsa_system_sgpr_private_segment_wavefront_offset 0
		.amdhsa_system_sgpr_workgroup_id_x 1
		.amdhsa_system_sgpr_workgroup_id_y 1
		.amdhsa_system_sgpr_workgroup_id_z 1
		.amdhsa_system_sgpr_workgroup_info 0
		.amdhsa_system_vgpr_workitem_id 0
		.amdhsa_next_free_vgpr 17
		.amdhsa_next_free_sgpr 34
		.amdhsa_reserve_vcc 1
		.amdhsa_reserve_flat_scratch 0
		.amdhsa_float_round_mode_32 0
		.amdhsa_float_round_mode_16_64 0
		.amdhsa_float_denorm_mode_32 3
		.amdhsa_float_denorm_mode_16_64 3
		.amdhsa_dx10_clamp 1
		.amdhsa_ieee_mode 1
		.amdhsa_fp16_overflow 0
		.amdhsa_workgroup_processor_mode 1
		.amdhsa_memory_ordered 1
		.amdhsa_forward_progress 1
		.amdhsa_shared_vgpr_count 0
		.amdhsa_exception_fp_ieee_invalid_op 0
		.amdhsa_exception_fp_denorm_src 0
		.amdhsa_exception_fp_ieee_div_zero 0
		.amdhsa_exception_fp_ieee_overflow 0
		.amdhsa_exception_fp_ieee_underflow 0
		.amdhsa_exception_fp_ieee_inexact 0
		.amdhsa_exception_int_div_zero 0
	.end_amdhsa_kernel
	.section	.text._ZN9rocsolver6v33100L17larf_right_kernelILi1024E19rocblas_complex_numIfEiPS3_EEvT1_S5_T2_lS5_lPKT0_lS6_lS5_l,"axG",@progbits,_ZN9rocsolver6v33100L17larf_right_kernelILi1024E19rocblas_complex_numIfEiPS3_EEvT1_S5_T2_lS5_lPKT0_lS6_lS5_l,comdat
.Lfunc_end15:
	.size	_ZN9rocsolver6v33100L17larf_right_kernelILi1024E19rocblas_complex_numIfEiPS3_EEvT1_S5_T2_lS5_lPKT0_lS6_lS5_l, .Lfunc_end15-_ZN9rocsolver6v33100L17larf_right_kernelILi1024E19rocblas_complex_numIfEiPS3_EEvT1_S5_T2_lS5_lPKT0_lS6_lS5_l
                                        ; -- End function
	.set _ZN9rocsolver6v33100L17larf_right_kernelILi1024E19rocblas_complex_numIfEiPS3_EEvT1_S5_T2_lS5_lPKT0_lS6_lS5_l.num_vgpr, 17
	.set _ZN9rocsolver6v33100L17larf_right_kernelILi1024E19rocblas_complex_numIfEiPS3_EEvT1_S5_T2_lS5_lPKT0_lS6_lS5_l.num_agpr, 0
	.set _ZN9rocsolver6v33100L17larf_right_kernelILi1024E19rocblas_complex_numIfEiPS3_EEvT1_S5_T2_lS5_lPKT0_lS6_lS5_l.numbered_sgpr, 34
	.set _ZN9rocsolver6v33100L17larf_right_kernelILi1024E19rocblas_complex_numIfEiPS3_EEvT1_S5_T2_lS5_lPKT0_lS6_lS5_l.num_named_barrier, 0
	.set _ZN9rocsolver6v33100L17larf_right_kernelILi1024E19rocblas_complex_numIfEiPS3_EEvT1_S5_T2_lS5_lPKT0_lS6_lS5_l.private_seg_size, 0
	.set _ZN9rocsolver6v33100L17larf_right_kernelILi1024E19rocblas_complex_numIfEiPS3_EEvT1_S5_T2_lS5_lPKT0_lS6_lS5_l.uses_vcc, 1
	.set _ZN9rocsolver6v33100L17larf_right_kernelILi1024E19rocblas_complex_numIfEiPS3_EEvT1_S5_T2_lS5_lPKT0_lS6_lS5_l.uses_flat_scratch, 0
	.set _ZN9rocsolver6v33100L17larf_right_kernelILi1024E19rocblas_complex_numIfEiPS3_EEvT1_S5_T2_lS5_lPKT0_lS6_lS5_l.has_dyn_sized_stack, 0
	.set _ZN9rocsolver6v33100L17larf_right_kernelILi1024E19rocblas_complex_numIfEiPS3_EEvT1_S5_T2_lS5_lPKT0_lS6_lS5_l.has_recursion, 0
	.set _ZN9rocsolver6v33100L17larf_right_kernelILi1024E19rocblas_complex_numIfEiPS3_EEvT1_S5_T2_lS5_lPKT0_lS6_lS5_l.has_indirect_call, 0
	.section	.AMDGPU.csdata,"",@progbits
; Kernel info:
; codeLenInByte = 1776
; TotalNumSgprs: 36
; NumVgprs: 17
; ScratchSize: 0
; MemoryBound: 0
; FloatMode: 240
; IeeeMode: 1
; LDSByteSize: 0 bytes/workgroup (compile time only)
; SGPRBlocks: 0
; VGPRBlocks: 2
; NumSGPRsForWavesPerEU: 36
; NumVGPRsForWavesPerEU: 17
; Occupancy: 16
; WaveLimiterHint : 0
; COMPUTE_PGM_RSRC2:SCRATCH_EN: 0
; COMPUTE_PGM_RSRC2:USER_SGPR: 6
; COMPUTE_PGM_RSRC2:TRAP_HANDLER: 0
; COMPUTE_PGM_RSRC2:TGID_X_EN: 1
; COMPUTE_PGM_RSRC2:TGID_Y_EN: 1
; COMPUTE_PGM_RSRC2:TGID_Z_EN: 1
; COMPUTE_PGM_RSRC2:TIDIG_COMP_CNT: 0
	.section	.text._ZN9rocsolver6v33100L12subtract_tauI19rocblas_complex_numIfEPS3_EEviiT0_iilPT_l,"axG",@progbits,_ZN9rocsolver6v33100L12subtract_tauI19rocblas_complex_numIfEPS3_EEviiT0_iilPT_l,comdat
	.globl	_ZN9rocsolver6v33100L12subtract_tauI19rocblas_complex_numIfEPS3_EEviiT0_iilPT_l ; -- Begin function _ZN9rocsolver6v33100L12subtract_tauI19rocblas_complex_numIfEPS3_EEviiT0_iilPT_l
	.p2align	8
	.type	_ZN9rocsolver6v33100L12subtract_tauI19rocblas_complex_numIfEPS3_EEviiT0_iilPT_l,@function
_ZN9rocsolver6v33100L12subtract_tauI19rocblas_complex_numIfEPS3_EEviiT0_iilPT_l: ; @_ZN9rocsolver6v33100L12subtract_tauI19rocblas_complex_numIfEPS3_EEviiT0_iilPT_l
; %bb.0:
	s_clause 0x3
	s_load_dwordx2 s[12:13], s[4:5], 0x10
	s_load_dwordx4 s[8:11], s[4:5], 0x18
	s_load_dwordx2 s[14:15], s[4:5], 0x28
	s_load_dwordx4 s[0:3], s[4:5], 0x0
	v_mov_b32_e32 v2, 0
	s_waitcnt lgkmcnt(0)
	s_ashr_i32 s5, s12, 31
	s_mul_i32 s7, s9, s6
	s_mul_hi_u32 s9, s8, s6
	s_mul_i32 s8, s8, s6
	s_add_i32 s9, s9, s7
	s_mov_b32 s4, s12
	s_lshl_b64 s[8:9], s[8:9], 3
	s_mul_i32 s7, s15, s6
	s_add_u32 s8, s2, s8
	s_addc_u32 s9, s3, s9
	s_lshl_b64 s[2:3], s[4:5], 3
	s_mul_hi_u32 s12, s14, s6
	s_mul_i32 s4, s14, s6
	s_add_u32 s6, s8, s2
	s_addc_u32 s8, s9, s3
	s_add_i32 s5, s12, s7
	s_mul_i32 s1, s13, s1
	s_lshl_b64 s[2:3], s[4:5], 3
	s_add_u32 s2, s10, s2
	s_addc_u32 s3, s11, s3
	s_add_i32 s0, s1, s0
	s_load_dwordx2 s[4:5], s[2:3], 0x0
	s_ashr_i32 s1, s0, 31
	s_lshl_b64 s[0:1], s[0:1], 3
	s_waitcnt lgkmcnt(0)
	s_xor_b32 s7, s4, 0x80000000
	s_xor_b32 s5, s5, 0x80000000
	v_mov_b32_e32 v0, s7
	v_mov_b32_e32 v1, s5
	s_add_u32 s0, s6, s0
	s_addc_u32 s1, s8, s1
	global_store_dwordx2 v2, v[0:1], s[2:3]
	v_sub_f32_e64 v0, 1.0, s4
	global_store_dwordx2 v2, v[0:1], s[0:1]
	s_endpgm
	.section	.rodata,"a",@progbits
	.p2align	6, 0x0
	.amdhsa_kernel _ZN9rocsolver6v33100L12subtract_tauI19rocblas_complex_numIfEPS3_EEviiT0_iilPT_l
		.amdhsa_group_segment_fixed_size 0
		.amdhsa_private_segment_fixed_size 0
		.amdhsa_kernarg_size 48
		.amdhsa_user_sgpr_count 6
		.amdhsa_user_sgpr_private_segment_buffer 1
		.amdhsa_user_sgpr_dispatch_ptr 0
		.amdhsa_user_sgpr_queue_ptr 0
		.amdhsa_user_sgpr_kernarg_segment_ptr 1
		.amdhsa_user_sgpr_dispatch_id 0
		.amdhsa_user_sgpr_flat_scratch_init 0
		.amdhsa_user_sgpr_private_segment_size 0
		.amdhsa_wavefront_size32 1
		.amdhsa_uses_dynamic_stack 0
		.amdhsa_system_sgpr_private_segment_wavefront_offset 0
		.amdhsa_system_sgpr_workgroup_id_x 1
		.amdhsa_system_sgpr_workgroup_id_y 0
		.amdhsa_system_sgpr_workgroup_id_z 0
		.amdhsa_system_sgpr_workgroup_info 0
		.amdhsa_system_vgpr_workitem_id 0
		.amdhsa_next_free_vgpr 3
		.amdhsa_next_free_sgpr 16
		.amdhsa_reserve_vcc 0
		.amdhsa_reserve_flat_scratch 0
		.amdhsa_float_round_mode_32 0
		.amdhsa_float_round_mode_16_64 0
		.amdhsa_float_denorm_mode_32 3
		.amdhsa_float_denorm_mode_16_64 3
		.amdhsa_dx10_clamp 1
		.amdhsa_ieee_mode 1
		.amdhsa_fp16_overflow 0
		.amdhsa_workgroup_processor_mode 1
		.amdhsa_memory_ordered 1
		.amdhsa_forward_progress 1
		.amdhsa_shared_vgpr_count 0
		.amdhsa_exception_fp_ieee_invalid_op 0
		.amdhsa_exception_fp_denorm_src 0
		.amdhsa_exception_fp_ieee_div_zero 0
		.amdhsa_exception_fp_ieee_overflow 0
		.amdhsa_exception_fp_ieee_underflow 0
		.amdhsa_exception_fp_ieee_inexact 0
		.amdhsa_exception_int_div_zero 0
	.end_amdhsa_kernel
	.section	.text._ZN9rocsolver6v33100L12subtract_tauI19rocblas_complex_numIfEPS3_EEviiT0_iilPT_l,"axG",@progbits,_ZN9rocsolver6v33100L12subtract_tauI19rocblas_complex_numIfEPS3_EEviiT0_iilPT_l,comdat
.Lfunc_end16:
	.size	_ZN9rocsolver6v33100L12subtract_tauI19rocblas_complex_numIfEPS3_EEviiT0_iilPT_l, .Lfunc_end16-_ZN9rocsolver6v33100L12subtract_tauI19rocblas_complex_numIfEPS3_EEviiT0_iilPT_l
                                        ; -- End function
	.set _ZN9rocsolver6v33100L12subtract_tauI19rocblas_complex_numIfEPS3_EEviiT0_iilPT_l.num_vgpr, 3
	.set _ZN9rocsolver6v33100L12subtract_tauI19rocblas_complex_numIfEPS3_EEviiT0_iilPT_l.num_agpr, 0
	.set _ZN9rocsolver6v33100L12subtract_tauI19rocblas_complex_numIfEPS3_EEviiT0_iilPT_l.numbered_sgpr, 16
	.set _ZN9rocsolver6v33100L12subtract_tauI19rocblas_complex_numIfEPS3_EEviiT0_iilPT_l.num_named_barrier, 0
	.set _ZN9rocsolver6v33100L12subtract_tauI19rocblas_complex_numIfEPS3_EEviiT0_iilPT_l.private_seg_size, 0
	.set _ZN9rocsolver6v33100L12subtract_tauI19rocblas_complex_numIfEPS3_EEviiT0_iilPT_l.uses_vcc, 0
	.set _ZN9rocsolver6v33100L12subtract_tauI19rocblas_complex_numIfEPS3_EEviiT0_iilPT_l.uses_flat_scratch, 0
	.set _ZN9rocsolver6v33100L12subtract_tauI19rocblas_complex_numIfEPS3_EEviiT0_iilPT_l.has_dyn_sized_stack, 0
	.set _ZN9rocsolver6v33100L12subtract_tauI19rocblas_complex_numIfEPS3_EEviiT0_iilPT_l.has_recursion, 0
	.set _ZN9rocsolver6v33100L12subtract_tauI19rocblas_complex_numIfEPS3_EEviiT0_iilPT_l.has_indirect_call, 0
	.section	.AMDGPU.csdata,"",@progbits
; Kernel info:
; codeLenInByte = 208
; TotalNumSgprs: 16
; NumVgprs: 3
; ScratchSize: 0
; MemoryBound: 0
; FloatMode: 240
; IeeeMode: 1
; LDSByteSize: 0 bytes/workgroup (compile time only)
; SGPRBlocks: 0
; VGPRBlocks: 0
; NumSGPRsForWavesPerEU: 16
; NumVGPRsForWavesPerEU: 3
; Occupancy: 16
; WaveLimiterHint : 0
; COMPUTE_PGM_RSRC2:SCRATCH_EN: 0
; COMPUTE_PGM_RSRC2:USER_SGPR: 6
; COMPUTE_PGM_RSRC2:TRAP_HANDLER: 0
; COMPUTE_PGM_RSRC2:TGID_X_EN: 1
; COMPUTE_PGM_RSRC2:TGID_Y_EN: 0
; COMPUTE_PGM_RSRC2:TGID_Z_EN: 0
; COMPUTE_PGM_RSRC2:TIDIG_COMP_CNT: 0
	.section	.text._ZN9rocsolver6v33100L6restauI19rocblas_complex_numIfEEEviPT_l,"axG",@progbits,_ZN9rocsolver6v33100L6restauI19rocblas_complex_numIfEEEviPT_l,comdat
	.globl	_ZN9rocsolver6v33100L6restauI19rocblas_complex_numIfEEEviPT_l ; -- Begin function _ZN9rocsolver6v33100L6restauI19rocblas_complex_numIfEEEviPT_l
	.p2align	8
	.type	_ZN9rocsolver6v33100L6restauI19rocblas_complex_numIfEEEviPT_l,@function
_ZN9rocsolver6v33100L6restauI19rocblas_complex_numIfEEEviPT_l: ; @_ZN9rocsolver6v33100L6restauI19rocblas_complex_numIfEEEviPT_l
; %bb.0:
	s_clause 0x1
	s_load_dword s0, s[4:5], 0x24
	s_load_dword s1, s[4:5], 0x0
	s_waitcnt lgkmcnt(0)
	s_and_b32 s0, s0, 0xffff
	v_mad_u64_u32 v[0:1], null, s6, s0, v[0:1]
	s_mov_b32 s0, exec_lo
	v_cmpx_gt_u32_e64 s1, v0
	s_cbranch_execz .LBB17_2
; %bb.1:
	s_load_dwordx4 s[0:3], s[4:5], 0x8
	v_mov_b32_e32 v1, 0
	v_lshlrev_b64 v[0:1], 3, v[0:1]
	s_waitcnt lgkmcnt(0)
	s_mul_i32 s3, s3, s7
	s_mul_hi_u32 s4, s2, s7
	s_mul_i32 s2, s2, s7
	s_add_i32 s3, s4, s3
	s_lshl_b64 s[2:3], s[2:3], 3
	s_add_u32 s0, s0, s2
	s_addc_u32 s1, s1, s3
	v_add_co_u32 v0, vcc_lo, s0, v0
	v_add_co_ci_u32_e64 v1, null, s1, v1, vcc_lo
	global_load_dwordx2 v[2:3], v[0:1], off
	s_waitcnt vmcnt(0)
	v_xor_b32_e32 v2, 0x80000000, v2
	v_xor_b32_e32 v3, 0x80000000, v3
	global_store_dwordx2 v[0:1], v[2:3], off
.LBB17_2:
	s_endpgm
	.section	.rodata,"a",@progbits
	.p2align	6, 0x0
	.amdhsa_kernel _ZN9rocsolver6v33100L6restauI19rocblas_complex_numIfEEEviPT_l
		.amdhsa_group_segment_fixed_size 0
		.amdhsa_private_segment_fixed_size 0
		.amdhsa_kernarg_size 280
		.amdhsa_user_sgpr_count 6
		.amdhsa_user_sgpr_private_segment_buffer 1
		.amdhsa_user_sgpr_dispatch_ptr 0
		.amdhsa_user_sgpr_queue_ptr 0
		.amdhsa_user_sgpr_kernarg_segment_ptr 1
		.amdhsa_user_sgpr_dispatch_id 0
		.amdhsa_user_sgpr_flat_scratch_init 0
		.amdhsa_user_sgpr_private_segment_size 0
		.amdhsa_wavefront_size32 1
		.amdhsa_uses_dynamic_stack 0
		.amdhsa_system_sgpr_private_segment_wavefront_offset 0
		.amdhsa_system_sgpr_workgroup_id_x 1
		.amdhsa_system_sgpr_workgroup_id_y 1
		.amdhsa_system_sgpr_workgroup_id_z 0
		.amdhsa_system_sgpr_workgroup_info 0
		.amdhsa_system_vgpr_workitem_id 0
		.amdhsa_next_free_vgpr 4
		.amdhsa_next_free_sgpr 8
		.amdhsa_reserve_vcc 1
		.amdhsa_reserve_flat_scratch 0
		.amdhsa_float_round_mode_32 0
		.amdhsa_float_round_mode_16_64 0
		.amdhsa_float_denorm_mode_32 3
		.amdhsa_float_denorm_mode_16_64 3
		.amdhsa_dx10_clamp 1
		.amdhsa_ieee_mode 1
		.amdhsa_fp16_overflow 0
		.amdhsa_workgroup_processor_mode 1
		.amdhsa_memory_ordered 1
		.amdhsa_forward_progress 1
		.amdhsa_shared_vgpr_count 0
		.amdhsa_exception_fp_ieee_invalid_op 0
		.amdhsa_exception_fp_denorm_src 0
		.amdhsa_exception_fp_ieee_div_zero 0
		.amdhsa_exception_fp_ieee_overflow 0
		.amdhsa_exception_fp_ieee_underflow 0
		.amdhsa_exception_fp_ieee_inexact 0
		.amdhsa_exception_int_div_zero 0
	.end_amdhsa_kernel
	.section	.text._ZN9rocsolver6v33100L6restauI19rocblas_complex_numIfEEEviPT_l,"axG",@progbits,_ZN9rocsolver6v33100L6restauI19rocblas_complex_numIfEEEviPT_l,comdat
.Lfunc_end17:
	.size	_ZN9rocsolver6v33100L6restauI19rocblas_complex_numIfEEEviPT_l, .Lfunc_end17-_ZN9rocsolver6v33100L6restauI19rocblas_complex_numIfEEEviPT_l
                                        ; -- End function
	.set _ZN9rocsolver6v33100L6restauI19rocblas_complex_numIfEEEviPT_l.num_vgpr, 4
	.set _ZN9rocsolver6v33100L6restauI19rocblas_complex_numIfEEEviPT_l.num_agpr, 0
	.set _ZN9rocsolver6v33100L6restauI19rocblas_complex_numIfEEEviPT_l.numbered_sgpr, 8
	.set _ZN9rocsolver6v33100L6restauI19rocblas_complex_numIfEEEviPT_l.num_named_barrier, 0
	.set _ZN9rocsolver6v33100L6restauI19rocblas_complex_numIfEEEviPT_l.private_seg_size, 0
	.set _ZN9rocsolver6v33100L6restauI19rocblas_complex_numIfEEEviPT_l.uses_vcc, 1
	.set _ZN9rocsolver6v33100L6restauI19rocblas_complex_numIfEEEviPT_l.uses_flat_scratch, 0
	.set _ZN9rocsolver6v33100L6restauI19rocblas_complex_numIfEEEviPT_l.has_dyn_sized_stack, 0
	.set _ZN9rocsolver6v33100L6restauI19rocblas_complex_numIfEEEviPT_l.has_recursion, 0
	.set _ZN9rocsolver6v33100L6restauI19rocblas_complex_numIfEEEviPT_l.has_indirect_call, 0
	.section	.AMDGPU.csdata,"",@progbits
; Kernel info:
; codeLenInByte = 164
; TotalNumSgprs: 10
; NumVgprs: 4
; ScratchSize: 0
; MemoryBound: 0
; FloatMode: 240
; IeeeMode: 1
; LDSByteSize: 0 bytes/workgroup (compile time only)
; SGPRBlocks: 0
; VGPRBlocks: 0
; NumSGPRsForWavesPerEU: 10
; NumVGPRsForWavesPerEU: 4
; Occupancy: 16
; WaveLimiterHint : 0
; COMPUTE_PGM_RSRC2:SCRATCH_EN: 0
; COMPUTE_PGM_RSRC2:USER_SGPR: 6
; COMPUTE_PGM_RSRC2:TRAP_HANDLER: 0
; COMPUTE_PGM_RSRC2:TGID_X_EN: 1
; COMPUTE_PGM_RSRC2:TGID_Y_EN: 1
; COMPUTE_PGM_RSRC2:TGID_Z_EN: 0
; COMPUTE_PGM_RSRC2:TIDIG_COMP_CNT: 0
	.section	.text._ZN9rocsolver6v33100L6iota_nI19rocblas_complex_numIdEEEvPT_jS4_,"axG",@progbits,_ZN9rocsolver6v33100L6iota_nI19rocblas_complex_numIdEEEvPT_jS4_,comdat
	.globl	_ZN9rocsolver6v33100L6iota_nI19rocblas_complex_numIdEEEvPT_jS4_ ; -- Begin function _ZN9rocsolver6v33100L6iota_nI19rocblas_complex_numIdEEEvPT_jS4_
	.p2align	8
	.type	_ZN9rocsolver6v33100L6iota_nI19rocblas_complex_numIdEEEvPT_jS4_,@function
_ZN9rocsolver6v33100L6iota_nI19rocblas_complex_numIdEEEvPT_jS4_: ; @_ZN9rocsolver6v33100L6iota_nI19rocblas_complex_numIdEEEvPT_jS4_
; %bb.0:
	s_load_dword s0, s[4:5], 0x8
	s_waitcnt lgkmcnt(0)
	v_cmp_gt_u32_e32 vcc_lo, s0, v0
	s_and_saveexec_b32 s0, vcc_lo
	s_cbranch_execz .LBB18_2
; %bb.1:
	v_cvt_f64_u32_e32 v[1:2], v0
	s_load_dwordx4 s[0:3], s[4:5], 0x10
	v_lshlrev_b32_e32 v0, 4, v0
	s_waitcnt lgkmcnt(0)
	v_add_f64 v[3:4], s[2:3], 0
	v_add_f64 v[1:2], s[0:1], v[1:2]
	s_load_dwordx2 s[0:1], s[4:5], 0x0
	s_waitcnt lgkmcnt(0)
	global_store_dwordx4 v0, v[1:4], s[0:1]
.LBB18_2:
	s_endpgm
	.section	.rodata,"a",@progbits
	.p2align	6, 0x0
	.amdhsa_kernel _ZN9rocsolver6v33100L6iota_nI19rocblas_complex_numIdEEEvPT_jS4_
		.amdhsa_group_segment_fixed_size 0
		.amdhsa_private_segment_fixed_size 0
		.amdhsa_kernarg_size 32
		.amdhsa_user_sgpr_count 6
		.amdhsa_user_sgpr_private_segment_buffer 1
		.amdhsa_user_sgpr_dispatch_ptr 0
		.amdhsa_user_sgpr_queue_ptr 0
		.amdhsa_user_sgpr_kernarg_segment_ptr 1
		.amdhsa_user_sgpr_dispatch_id 0
		.amdhsa_user_sgpr_flat_scratch_init 0
		.amdhsa_user_sgpr_private_segment_size 0
		.amdhsa_wavefront_size32 1
		.amdhsa_uses_dynamic_stack 0
		.amdhsa_system_sgpr_private_segment_wavefront_offset 0
		.amdhsa_system_sgpr_workgroup_id_x 1
		.amdhsa_system_sgpr_workgroup_id_y 0
		.amdhsa_system_sgpr_workgroup_id_z 0
		.amdhsa_system_sgpr_workgroup_info 0
		.amdhsa_system_vgpr_workitem_id 0
		.amdhsa_next_free_vgpr 5
		.amdhsa_next_free_sgpr 6
		.amdhsa_reserve_vcc 1
		.amdhsa_reserve_flat_scratch 0
		.amdhsa_float_round_mode_32 0
		.amdhsa_float_round_mode_16_64 0
		.amdhsa_float_denorm_mode_32 3
		.amdhsa_float_denorm_mode_16_64 3
		.amdhsa_dx10_clamp 1
		.amdhsa_ieee_mode 1
		.amdhsa_fp16_overflow 0
		.amdhsa_workgroup_processor_mode 1
		.amdhsa_memory_ordered 1
		.amdhsa_forward_progress 1
		.amdhsa_shared_vgpr_count 0
		.amdhsa_exception_fp_ieee_invalid_op 0
		.amdhsa_exception_fp_denorm_src 0
		.amdhsa_exception_fp_ieee_div_zero 0
		.amdhsa_exception_fp_ieee_overflow 0
		.amdhsa_exception_fp_ieee_underflow 0
		.amdhsa_exception_fp_ieee_inexact 0
		.amdhsa_exception_int_div_zero 0
	.end_amdhsa_kernel
	.section	.text._ZN9rocsolver6v33100L6iota_nI19rocblas_complex_numIdEEEvPT_jS4_,"axG",@progbits,_ZN9rocsolver6v33100L6iota_nI19rocblas_complex_numIdEEEvPT_jS4_,comdat
.Lfunc_end18:
	.size	_ZN9rocsolver6v33100L6iota_nI19rocblas_complex_numIdEEEvPT_jS4_, .Lfunc_end18-_ZN9rocsolver6v33100L6iota_nI19rocblas_complex_numIdEEEvPT_jS4_
                                        ; -- End function
	.set _ZN9rocsolver6v33100L6iota_nI19rocblas_complex_numIdEEEvPT_jS4_.num_vgpr, 5
	.set _ZN9rocsolver6v33100L6iota_nI19rocblas_complex_numIdEEEvPT_jS4_.num_agpr, 0
	.set _ZN9rocsolver6v33100L6iota_nI19rocblas_complex_numIdEEEvPT_jS4_.numbered_sgpr, 6
	.set _ZN9rocsolver6v33100L6iota_nI19rocblas_complex_numIdEEEvPT_jS4_.num_named_barrier, 0
	.set _ZN9rocsolver6v33100L6iota_nI19rocblas_complex_numIdEEEvPT_jS4_.private_seg_size, 0
	.set _ZN9rocsolver6v33100L6iota_nI19rocblas_complex_numIdEEEvPT_jS4_.uses_vcc, 1
	.set _ZN9rocsolver6v33100L6iota_nI19rocblas_complex_numIdEEEvPT_jS4_.uses_flat_scratch, 0
	.set _ZN9rocsolver6v33100L6iota_nI19rocblas_complex_numIdEEEvPT_jS4_.has_dyn_sized_stack, 0
	.set _ZN9rocsolver6v33100L6iota_nI19rocblas_complex_numIdEEEvPT_jS4_.has_recursion, 0
	.set _ZN9rocsolver6v33100L6iota_nI19rocblas_complex_numIdEEEvPT_jS4_.has_indirect_call, 0
	.section	.AMDGPU.csdata,"",@progbits
; Kernel info:
; codeLenInByte = 84
; TotalNumSgprs: 8
; NumVgprs: 5
; ScratchSize: 0
; MemoryBound: 0
; FloatMode: 240
; IeeeMode: 1
; LDSByteSize: 0 bytes/workgroup (compile time only)
; SGPRBlocks: 0
; VGPRBlocks: 0
; NumSGPRsForWavesPerEU: 8
; NumVGPRsForWavesPerEU: 5
; Occupancy: 16
; WaveLimiterHint : 0
; COMPUTE_PGM_RSRC2:SCRATCH_EN: 0
; COMPUTE_PGM_RSRC2:USER_SGPR: 6
; COMPUTE_PGM_RSRC2:TRAP_HANDLER: 0
; COMPUTE_PGM_RSRC2:TGID_X_EN: 1
; COMPUTE_PGM_RSRC2:TGID_Y_EN: 0
; COMPUTE_PGM_RSRC2:TGID_Z_EN: 0
; COMPUTE_PGM_RSRC2:TIDIG_COMP_CNT: 0
	.section	.text._ZN9rocsolver6v33100L16org2l_init_identI19rocblas_complex_numIdEPS3_EEviiiT0_iil,"axG",@progbits,_ZN9rocsolver6v33100L16org2l_init_identI19rocblas_complex_numIdEPS3_EEviiiT0_iil,comdat
	.globl	_ZN9rocsolver6v33100L16org2l_init_identI19rocblas_complex_numIdEPS3_EEviiiT0_iil ; -- Begin function _ZN9rocsolver6v33100L16org2l_init_identI19rocblas_complex_numIdEPS3_EEviiiT0_iil
	.p2align	8
	.type	_ZN9rocsolver6v33100L16org2l_init_identI19rocblas_complex_numIdEPS3_EEviiiT0_iil,@function
_ZN9rocsolver6v33100L16org2l_init_identI19rocblas_complex_numIdEPS3_EEviiiT0_iil: ; @_ZN9rocsolver6v33100L16org2l_init_identI19rocblas_complex_numIdEPS3_EEviiiT0_iil
; %bb.0:
	s_clause 0x1
	s_load_dword s0, s[4:5], 0x34
	s_load_dwordx4 s[12:15], s[4:5], 0x0
	s_waitcnt lgkmcnt(0)
	s_lshr_b32 s1, s0, 16
	s_and_b32 s0, s0, 0xffff
	v_mad_u64_u32 v[2:3], null, s6, s0, v[0:1]
	v_mad_u64_u32 v[0:1], null, s7, s1, v[1:2]
	v_cmp_gt_u32_e32 vcc_lo, s12, v2
	v_cmp_gt_u32_e64 s0, s13, v0
	s_and_b32 s0, vcc_lo, s0
	s_and_saveexec_b32 s1, s0
	s_cbranch_execz .LBB19_11
; %bb.1:
	s_clause 0x1
	s_load_dwordx2 s[6:7], s[4:5], 0x20
	s_load_dwordx4 s[0:3], s[4:5], 0x10
	s_waitcnt lgkmcnt(0)
	s_mul_i32 s5, s7, s8
	s_mul_hi_u32 s7, s6, s8
	s_mul_i32 s4, s6, s8
	s_add_i32 s5, s7, s5
	s_ashr_i32 s7, s2, 31
	s_lshl_b64 s[4:5], s[4:5], 4
	s_mov_b32 s6, s2
	s_add_u32 s2, s0, s4
	s_addc_u32 s4, s1, s5
	s_lshl_b64 s[0:1], s[6:7], 4
	s_add_u32 s0, s2, s0
	s_addc_u32 s1, s4, s1
	s_sub_i32 s2, s12, s13
	v_add_nc_u32_e32 v1, s2, v0
	s_mov_b32 s2, exec_lo
	v_cmpx_ne_u32_e64 v2, v1
	s_xor_b32 s2, exec_lo, s2
	s_cbranch_execz .LBB19_9
; %bb.2:
	s_mov_b32 s4, exec_lo
	v_cmpx_le_u32_e64 v2, v1
	s_xor_b32 s4, exec_lo, s4
	s_cbranch_execz .LBB19_6
; %bb.3:
	s_sub_i32 s5, s13, s14
	v_cmp_gt_u32_e32 vcc_lo, s5, v0
	s_and_saveexec_b32 s5, vcc_lo
	s_cbranch_execz .LBB19_5
; %bb.4:
	v_mad_u64_u32 v[0:1], null, v0, s3, v[2:3]
	v_mov_b32_e32 v1, 0
	v_mov_b32_e32 v2, v1
	v_lshlrev_b64 v[3:4], 4, v[0:1]
	v_mov_b32_e32 v0, v1
	v_add_co_u32 v5, vcc_lo, s0, v3
	v_add_co_ci_u32_e64 v6, null, s1, v4, vcc_lo
	v_mov_b32_e32 v3, v1
	global_store_dwordx4 v[5:6], v[0:3], off
.LBB19_5:
	s_or_b32 exec_lo, exec_lo, s5
                                        ; implicit-def: $vgpr2_vgpr3
                                        ; implicit-def: $vgpr0_vgpr1
.LBB19_6:
	s_andn2_saveexec_b32 s4, s4
	s_cbranch_execz .LBB19_8
; %bb.7:
	v_mad_u64_u32 v[0:1], null, v0, s3, v[2:3]
	v_mov_b32_e32 v1, 0
	v_mov_b32_e32 v2, v1
	v_lshlrev_b64 v[3:4], 4, v[0:1]
	v_mov_b32_e32 v0, v1
	v_add_co_u32 v5, vcc_lo, s0, v3
	v_add_co_ci_u32_e64 v6, null, s1, v4, vcc_lo
	v_mov_b32_e32 v3, v1
	global_store_dwordx4 v[5:6], v[0:3], off
.LBB19_8:
	s_or_b32 exec_lo, exec_lo, s4
                                        ; implicit-def: $vgpr2_vgpr3
                                        ; implicit-def: $vgpr0_vgpr1
.LBB19_9:
	s_andn2_saveexec_b32 s2, s2
	s_cbranch_execz .LBB19_11
; %bb.10:
	v_mad_u64_u32 v[1:2], null, v0, s3, v[2:3]
	v_mov_b32_e32 v2, 0
	v_mov_b32_e32 v0, v2
	v_lshlrev_b64 v[3:4], 4, v[1:2]
	v_mov_b32_e32 v1, 0x3ff00000
	v_add_co_u32 v5, vcc_lo, s0, v3
	v_add_co_ci_u32_e64 v6, null, s1, v4, vcc_lo
	v_mov_b32_e32 v3, v2
	global_store_dwordx4 v[5:6], v[0:3], off
.LBB19_11:
	s_endpgm
	.section	.rodata,"a",@progbits
	.p2align	6, 0x0
	.amdhsa_kernel _ZN9rocsolver6v33100L16org2l_init_identI19rocblas_complex_numIdEPS3_EEviiiT0_iil
		.amdhsa_group_segment_fixed_size 0
		.amdhsa_private_segment_fixed_size 0
		.amdhsa_kernarg_size 296
		.amdhsa_user_sgpr_count 6
		.amdhsa_user_sgpr_private_segment_buffer 1
		.amdhsa_user_sgpr_dispatch_ptr 0
		.amdhsa_user_sgpr_queue_ptr 0
		.amdhsa_user_sgpr_kernarg_segment_ptr 1
		.amdhsa_user_sgpr_dispatch_id 0
		.amdhsa_user_sgpr_flat_scratch_init 0
		.amdhsa_user_sgpr_private_segment_size 0
		.amdhsa_wavefront_size32 1
		.amdhsa_uses_dynamic_stack 0
		.amdhsa_system_sgpr_private_segment_wavefront_offset 0
		.amdhsa_system_sgpr_workgroup_id_x 1
		.amdhsa_system_sgpr_workgroup_id_y 1
		.amdhsa_system_sgpr_workgroup_id_z 1
		.amdhsa_system_sgpr_workgroup_info 0
		.amdhsa_system_vgpr_workitem_id 1
		.amdhsa_next_free_vgpr 7
		.amdhsa_next_free_sgpr 16
		.amdhsa_reserve_vcc 1
		.amdhsa_reserve_flat_scratch 0
		.amdhsa_float_round_mode_32 0
		.amdhsa_float_round_mode_16_64 0
		.amdhsa_float_denorm_mode_32 3
		.amdhsa_float_denorm_mode_16_64 3
		.amdhsa_dx10_clamp 1
		.amdhsa_ieee_mode 1
		.amdhsa_fp16_overflow 0
		.amdhsa_workgroup_processor_mode 1
		.amdhsa_memory_ordered 1
		.amdhsa_forward_progress 1
		.amdhsa_shared_vgpr_count 0
		.amdhsa_exception_fp_ieee_invalid_op 0
		.amdhsa_exception_fp_denorm_src 0
		.amdhsa_exception_fp_ieee_div_zero 0
		.amdhsa_exception_fp_ieee_overflow 0
		.amdhsa_exception_fp_ieee_underflow 0
		.amdhsa_exception_fp_ieee_inexact 0
		.amdhsa_exception_int_div_zero 0
	.end_amdhsa_kernel
	.section	.text._ZN9rocsolver6v33100L16org2l_init_identI19rocblas_complex_numIdEPS3_EEviiiT0_iil,"axG",@progbits,_ZN9rocsolver6v33100L16org2l_init_identI19rocblas_complex_numIdEPS3_EEviiiT0_iil,comdat
.Lfunc_end19:
	.size	_ZN9rocsolver6v33100L16org2l_init_identI19rocblas_complex_numIdEPS3_EEviiiT0_iil, .Lfunc_end19-_ZN9rocsolver6v33100L16org2l_init_identI19rocblas_complex_numIdEPS3_EEviiiT0_iil
                                        ; -- End function
	.set _ZN9rocsolver6v33100L16org2l_init_identI19rocblas_complex_numIdEPS3_EEviiiT0_iil.num_vgpr, 7
	.set _ZN9rocsolver6v33100L16org2l_init_identI19rocblas_complex_numIdEPS3_EEviiiT0_iil.num_agpr, 0
	.set _ZN9rocsolver6v33100L16org2l_init_identI19rocblas_complex_numIdEPS3_EEviiiT0_iil.numbered_sgpr, 16
	.set _ZN9rocsolver6v33100L16org2l_init_identI19rocblas_complex_numIdEPS3_EEviiiT0_iil.num_named_barrier, 0
	.set _ZN9rocsolver6v33100L16org2l_init_identI19rocblas_complex_numIdEPS3_EEviiiT0_iil.private_seg_size, 0
	.set _ZN9rocsolver6v33100L16org2l_init_identI19rocblas_complex_numIdEPS3_EEviiiT0_iil.uses_vcc, 1
	.set _ZN9rocsolver6v33100L16org2l_init_identI19rocblas_complex_numIdEPS3_EEviiiT0_iil.uses_flat_scratch, 0
	.set _ZN9rocsolver6v33100L16org2l_init_identI19rocblas_complex_numIdEPS3_EEviiiT0_iil.has_dyn_sized_stack, 0
	.set _ZN9rocsolver6v33100L16org2l_init_identI19rocblas_complex_numIdEPS3_EEviiiT0_iil.has_recursion, 0
	.set _ZN9rocsolver6v33100L16org2l_init_identI19rocblas_complex_numIdEPS3_EEviiiT0_iil.has_indirect_call, 0
	.section	.AMDGPU.csdata,"",@progbits
; Kernel info:
; codeLenInByte = 412
; TotalNumSgprs: 18
; NumVgprs: 7
; ScratchSize: 0
; MemoryBound: 0
; FloatMode: 240
; IeeeMode: 1
; LDSByteSize: 0 bytes/workgroup (compile time only)
; SGPRBlocks: 0
; VGPRBlocks: 0
; NumSGPRsForWavesPerEU: 18
; NumVGPRsForWavesPerEU: 7
; Occupancy: 16
; WaveLimiterHint : 0
; COMPUTE_PGM_RSRC2:SCRATCH_EN: 0
; COMPUTE_PGM_RSRC2:USER_SGPR: 6
; COMPUTE_PGM_RSRC2:TRAP_HANDLER: 0
; COMPUTE_PGM_RSRC2:TGID_X_EN: 1
; COMPUTE_PGM_RSRC2:TGID_Y_EN: 1
; COMPUTE_PGM_RSRC2:TGID_Z_EN: 1
; COMPUTE_PGM_RSRC2:TIDIG_COMP_CNT: 1
	.section	.text._ZN9rocsolver6v33100L16larf_left_kernelILi1024E19rocblas_complex_numIdEiPS3_EEvT1_S5_T2_lS5_lPKT0_lS6_lS5_l,"axG",@progbits,_ZN9rocsolver6v33100L16larf_left_kernelILi1024E19rocblas_complex_numIdEiPS3_EEvT1_S5_T2_lS5_lPKT0_lS6_lS5_l,comdat
	.globl	_ZN9rocsolver6v33100L16larf_left_kernelILi1024E19rocblas_complex_numIdEiPS3_EEvT1_S5_T2_lS5_lPKT0_lS6_lS5_l ; -- Begin function _ZN9rocsolver6v33100L16larf_left_kernelILi1024E19rocblas_complex_numIdEiPS3_EEvT1_S5_T2_lS5_lPKT0_lS6_lS5_l
	.p2align	8
	.type	_ZN9rocsolver6v33100L16larf_left_kernelILi1024E19rocblas_complex_numIdEiPS3_EEvT1_S5_T2_lS5_lPKT0_lS6_lS5_l,@function
_ZN9rocsolver6v33100L16larf_left_kernelILi1024E19rocblas_complex_numIdEiPS3_EEvT1_S5_T2_lS5_lPKT0_lS6_lS5_l: ; @_ZN9rocsolver6v33100L16larf_left_kernelILi1024E19rocblas_complex_numIdEiPS3_EEvT1_S5_T2_lS5_lPKT0_lS6_lS5_l
; %bb.0:
	s_clause 0x4
	s_load_dword s9, s[4:5], 0x0
	s_load_dwordx2 s[0:1], s[4:5], 0x50
	s_load_dword s2, s[4:5], 0x48
	s_load_dwordx2 s[10:11], s[4:5], 0x40
	s_load_dwordx8 s[12:19], s[4:5], 0x20
	v_mov_b32_e32 v1, 0
	v_mov_b32_e32 v3, 0
	;; [unrolled: 1-line block ×4, first 2 shown]
	v_lshlrev_b32_e32 v7, 4, v0
	s_ashr_i32 s25, s8, 31
	s_waitcnt lgkmcnt(0)
	v_cmp_gt_i32_e32 vcc_lo, s9, v0
	s_mul_i32 s22, s0, s25
	s_mul_hi_u32 s23, s0, s8
	s_mul_i32 s24, s1, s8
	s_mul_i32 s6, s0, s8
	s_mul_hi_i32 s21, s7, s2
	s_mul_i32 s20, s7, s2
	s_and_saveexec_b32 s26, vcc_lo
	s_cbranch_execz .LBB20_6
; %bb.1:
	s_clause 0x1
	s_load_dword s28, s[4:5], 0x18
	s_load_dwordx4 s[0:3], s[4:5], 0x8
	s_sub_i32 s5, 1, s9
	s_mul_i32 s7, s12, s25
	s_mul_hi_u32 s30, s12, s8
	s_mul_i32 s4, s12, s8
	s_mul_i32 s31, s13, s8
	v_add3_u32 v8, v7, 0, 0x200
	v_mov_b32_e32 v4, v0
	v_mov_b32_e32 v3, v8
	s_waitcnt lgkmcnt(0)
	s_ashr_i32 s29, s28, 31
	v_mad_i64_i32 v[1:2], null, s28, v0, 0
	v_cmp_lt_i64_e64 s27, s[28:29], 1
	s_mul_i32 s5, s28, s5
	s_and_b32 s12, s27, exec_lo
	s_cselect_b32 s12, s5, 0
	s_add_i32 s5, s30, s7
	s_ashr_i32 s13, s12, 31
	s_add_i32 s5, s5, s31
	s_lshl_b64 s[12:13], s[12:13], 4
	s_lshl_b64 s[2:3], s[2:3], 4
	;; [unrolled: 1-line block ×3, first 2 shown]
	v_lshlrev_b64 v[1:2], 4, v[1:2]
	s_add_u32 s0, s0, s12
	s_addc_u32 s1, s1, s13
	s_add_u32 s0, s0, s2
	s_addc_u32 s1, s1, s3
	;; [unrolled: 2-line block ×3, first 2 shown]
	v_add_co_u32 v1, s0, s0, v1
	v_add_co_ci_u32_e64 v2, null, s1, v2, s0
	s_mov_b32 s4, 0
	s_lshl_b64 s[2:3], s[28:29], 14
	.p2align	6
.LBB20_2:                               ; =>This Inner Loop Header: Depth=1
	global_load_dwordx4 v[9:12], v[1:2], off
	v_add_nc_u32_e32 v4, 0x400, v4
	v_add_co_u32 v1, s0, v1, s2
	v_add_co_ci_u32_e64 v2, null, s3, v2, s0
	v_cmp_le_i32_e64 s1, s9, v4
	s_or_b32 s4, s1, s4
	s_waitcnt vmcnt(0)
	ds_write2_b64 v3, v[9:10], v[11:12] offset1:1
	v_add_nc_u32_e32 v3, 0x4000, v3
	s_andn2_b32 exec_lo, exec_lo, s4
	s_cbranch_execnz .LBB20_2
; %bb.3:
	s_or_b32 exec_lo, exec_lo, s4
	s_add_i32 s0, s23, s22
	v_lshlrev_b32_e32 v1, 4, v0
	s_add_i32 s7, s0, s24
	s_lshl_b64 s[0:1], s[20:21], 4
	s_lshl_b64 s[2:3], s[6:7], 4
	v_mov_b32_e32 v3, 0
	s_add_u32 s2, s2, s0
	s_addc_u32 s3, s3, s1
	s_lshl_b64 s[0:1], s[10:11], 4
	v_mov_b32_e32 v4, 0
	s_add_u32 s0, s2, s0
	s_addc_u32 s1, s3, s1
	s_add_u32 s0, s18, s0
	s_addc_u32 s1, s19, s1
	v_add_co_u32 v1, s0, s0, v1
	v_add_co_ci_u32_e64 v2, null, s1, 0, s0
	v_mov_b32_e32 v9, v0
	v_add_co_u32 v5, s0, v1, 8
	v_add_co_ci_u32_e64 v6, null, 0, v2, s0
	v_mov_b32_e32 v1, 0
	v_mov_b32_e32 v2, 0
	s_mov_b32 s2, 0
	.p2align	6
.LBB20_4:                               ; =>This Inner Loop Header: Depth=1
	global_load_dwordx4 v[10:13], v[5:6], off offset:-8
	ds_read2_b64 v[14:17], v8 offset1:1
	v_add_nc_u32_e32 v9, 0x400, v9
	v_add_co_u32 v5, s1, 0x4000, v5
	v_add_nc_u32_e32 v8, 0x4000, v8
	v_add_co_ci_u32_e64 v6, null, 0, v6, s1
	v_cmp_le_i32_e64 s0, s9, v9
	s_or_b32 s2, s0, s2
	s_waitcnt vmcnt(0) lgkmcnt(0)
	v_mul_f64 v[18:19], v[12:13], v[16:17]
	v_mul_f64 v[12:13], v[12:13], v[14:15]
	v_fma_f64 v[14:15], v[10:11], v[14:15], v[18:19]
	v_fma_f64 v[10:11], v[10:11], v[16:17], -v[12:13]
	v_add_f64 v[3:4], v[3:4], v[14:15]
	v_add_f64 v[1:2], v[1:2], v[10:11]
	s_andn2_b32 exec_lo, exec_lo, s2
	s_cbranch_execnz .LBB20_4
; %bb.5:
	s_or_b32 exec_lo, exec_lo, s2
.LBB20_6:
	s_or_b32 exec_lo, exec_lo, s26
	v_mbcnt_lo_u32_b32 v10, -1, 0
	s_mov_b32 s1, exec_lo
	v_cmp_ne_u32_e64 s0, 31, v10
	v_add_co_ci_u32_e64 v5, null, 0, v10, s0
	v_cmp_gt_u32_e64 s0, 30, v10
	v_lshlrev_b32_e32 v9, 2, v5
	ds_bpermute_b32 v5, v9, v3
	ds_bpermute_b32 v6, v9, v4
	;; [unrolled: 1-line block ×4, first 2 shown]
	s_waitcnt lgkmcnt(2)
	v_add_f64 v[3:4], v[3:4], v[5:6]
	v_cndmask_b32_e64 v5, 0, 2, s0
	s_waitcnt lgkmcnt(0)
	v_add_f64 v[1:2], v[1:2], v[8:9]
	v_cmp_gt_u32_e64 s0, 28, v10
	v_add_lshl_u32 v9, v5, v10, 2
	ds_bpermute_b32 v5, v9, v3
	ds_bpermute_b32 v6, v9, v4
	;; [unrolled: 1-line block ×4, first 2 shown]
	s_waitcnt lgkmcnt(2)
	v_add_f64 v[3:4], v[3:4], v[5:6]
	v_cndmask_b32_e64 v5, 0, 4, s0
	s_waitcnt lgkmcnt(0)
	v_add_f64 v[1:2], v[1:2], v[8:9]
	v_cmp_gt_u32_e64 s0, 24, v10
	v_add_lshl_u32 v9, v5, v10, 2
	ds_bpermute_b32 v5, v9, v3
	ds_bpermute_b32 v6, v9, v4
	ds_bpermute_b32 v8, v9, v1
	ds_bpermute_b32 v9, v9, v2
	s_waitcnt lgkmcnt(2)
	v_add_f64 v[3:4], v[3:4], v[5:6]
	v_cndmask_b32_e64 v5, 0, 8, s0
	s_waitcnt lgkmcnt(0)
	v_add_f64 v[1:2], v[1:2], v[8:9]
	v_add_lshl_u32 v9, v5, v10, 2
	ds_bpermute_b32 v5, v9, v3
	ds_bpermute_b32 v6, v9, v4
	;; [unrolled: 1-line block ×4, first 2 shown]
	s_waitcnt lgkmcnt(2)
	v_add_f64 v[3:4], v[3:4], v[5:6]
	s_waitcnt lgkmcnt(0)
	v_add_f64 v[5:6], v[1:2], v[8:9]
	v_lshl_or_b32 v9, v10, 2, 64
	ds_bpermute_b32 v1, v9, v3
	ds_bpermute_b32 v2, v9, v4
	;; [unrolled: 1-line block ×4, first 2 shown]
	s_waitcnt lgkmcnt(2)
	v_add_f64 v[1:2], v[3:4], v[1:2]
	s_waitcnt lgkmcnt(0)
	v_add_f64 v[3:4], v[5:6], v[8:9]
	v_and_b32_e32 v5, 31, v0
	v_cmpx_eq_u32_e32 0, v5
; %bb.7:
	v_lshrrev_b32_e32 v5, 1, v0
	v_add_nc_u32_e32 v5, 0, v5
	ds_write2_b64 v5, v[1:2], v[3:4] offset1:1
; %bb.8:
	s_or_b32 exec_lo, exec_lo, s1
	s_mov_b32 s1, exec_lo
	s_waitcnt lgkmcnt(0)
	s_barrier
	buffer_gl0_inv
	v_cmpx_eq_u32_e32 0, v0
	s_cbranch_execz .LBB20_10
; %bb.9:
	v_mov_b32_e32 v16, 0
	ds_read2_b64 v[8:11], v16 offset0:2 offset1:3
	ds_read2_b64 v[12:15], v16 offset0:4 offset1:5
	s_waitcnt lgkmcnt(1)
	v_add_f64 v[1:2], v[1:2], v[8:9]
	v_add_f64 v[3:4], v[3:4], v[10:11]
	s_waitcnt lgkmcnt(0)
	v_add_f64 v[5:6], v[1:2], v[12:13]
	v_add_f64 v[12:13], v[3:4], v[14:15]
	ds_read2_b64 v[1:4], v16 offset0:6 offset1:7
	ds_read2_b64 v[8:11], v16 offset0:8 offset1:9
	s_waitcnt lgkmcnt(1)
	v_add_f64 v[1:2], v[5:6], v[1:2]
	v_add_f64 v[3:4], v[12:13], v[3:4]
	s_waitcnt lgkmcnt(0)
	v_add_f64 v[5:6], v[1:2], v[8:9]
	v_add_f64 v[12:13], v[3:4], v[10:11]
	;; [unrolled: 8-line block ×15, first 2 shown]
	ds_read2_b64 v[1:4], v16 offset0:62 offset1:63
	s_waitcnt lgkmcnt(0)
	v_add_f64 v[1:2], v[5:6], v[1:2]
	v_add_f64 v[3:4], v[8:9], v[3:4]
	ds_write2_b64 v16, v[1:2], v[3:4] offset1:1
.LBB20_10:
	s_or_b32 exec_lo, exec_lo, s1
	s_waitcnt lgkmcnt(0)
	s_barrier
	buffer_gl0_inv
	s_and_saveexec_b32 s0, vcc_lo
	s_cbranch_execz .LBB20_13
; %bb.11:
	s_mul_i32 s0, s16, s25
	s_mul_hi_u32 s1, s16, s8
	s_mul_i32 s2, s17, s8
	s_add_i32 s0, s1, s0
	v_mov_b32_e32 v1, 0
	s_add_i32 s1, s0, s2
	s_mul_i32 s0, s16, s8
	s_lshl_b64 s[0:1], s[0:1], 4
	ds_read2_b64 v[1:4], v1 offset1:1
	s_add_u32 s0, s14, s0
	s_addc_u32 s1, s15, s1
	s_load_dwordx4 s[0:3], s[0:1], 0x0
	s_waitcnt lgkmcnt(0)
	v_mul_f64 v[5:6], s[2:3], v[3:4]
	v_mul_f64 v[8:9], s[2:3], v[1:2]
	s_add_i32 s2, s23, s22
	s_add_i32 s7, s2, s24
	s_lshl_b64 s[2:3], s[20:21], 4
	s_lshl_b64 s[4:5], s[6:7], 4
	s_add_u32 s2, s4, s2
	s_addc_u32 s3, s5, s3
	v_fma_f64 v[1:2], v[1:2], -s[0:1], -v[5:6]
	v_fma_f64 v[3:4], s[0:1], v[3:4], -v[8:9]
	s_lshl_b64 s[0:1], s[10:11], 4
	s_add_u32 s0, s2, s0
	s_addc_u32 s1, s3, s1
	s_add_u32 s0, s18, s0
	s_addc_u32 s1, s19, s1
	v_add_co_u32 v5, s0, s0, v7
	v_add_co_ci_u32_e64 v6, null, s1, 0, s0
	v_add3_u32 v7, v7, 0, 0x200
	v_add_co_u32 v5, vcc_lo, v5, 8
	v_add_co_ci_u32_e64 v6, null, 0, v6, vcc_lo
	s_mov_b32 s1, 0
	.p2align	6
.LBB20_12:                              ; =>This Inner Loop Header: Depth=1
	global_load_dwordx4 v[8:11], v[5:6], off offset:-8
	ds_read2_b64 v[12:15], v7 offset1:1
	v_add_nc_u32_e32 v0, 0x400, v0
	v_add_nc_u32_e32 v7, 0x4000, v7
	v_cmp_le_i32_e32 vcc_lo, s9, v0
	s_or_b32 s1, vcc_lo, s1
	s_waitcnt lgkmcnt(0)
	v_mul_f64 v[16:17], v[3:4], v[14:15]
	v_mul_f64 v[14:15], v[1:2], v[14:15]
	v_fma_f64 v[16:17], v[1:2], v[12:13], -v[16:17]
	v_fma_f64 v[12:13], v[3:4], v[12:13], v[14:15]
	s_waitcnt vmcnt(0)
	v_add_f64 v[8:9], v[8:9], v[16:17]
	v_add_f64 v[10:11], v[12:13], v[10:11]
	global_store_dwordx4 v[5:6], v[8:11], off offset:-8
	v_add_co_u32 v5, s0, 0x4000, v5
	v_add_co_ci_u32_e64 v6, null, 0, v6, s0
	s_andn2_b32 exec_lo, exec_lo, s1
	s_cbranch_execnz .LBB20_12
.LBB20_13:
	s_endpgm
	.section	.rodata,"a",@progbits
	.p2align	6, 0x0
	.amdhsa_kernel _ZN9rocsolver6v33100L16larf_left_kernelILi1024E19rocblas_complex_numIdEiPS3_EEvT1_S5_T2_lS5_lPKT0_lS6_lS5_l
		.amdhsa_group_segment_fixed_size 0
		.amdhsa_private_segment_fixed_size 0
		.amdhsa_kernarg_size 88
		.amdhsa_user_sgpr_count 6
		.amdhsa_user_sgpr_private_segment_buffer 1
		.amdhsa_user_sgpr_dispatch_ptr 0
		.amdhsa_user_sgpr_queue_ptr 0
		.amdhsa_user_sgpr_kernarg_segment_ptr 1
		.amdhsa_user_sgpr_dispatch_id 0
		.amdhsa_user_sgpr_flat_scratch_init 0
		.amdhsa_user_sgpr_private_segment_size 0
		.amdhsa_wavefront_size32 1
		.amdhsa_uses_dynamic_stack 0
		.amdhsa_system_sgpr_private_segment_wavefront_offset 0
		.amdhsa_system_sgpr_workgroup_id_x 1
		.amdhsa_system_sgpr_workgroup_id_y 1
		.amdhsa_system_sgpr_workgroup_id_z 1
		.amdhsa_system_sgpr_workgroup_info 0
		.amdhsa_system_vgpr_workitem_id 0
		.amdhsa_next_free_vgpr 20
		.amdhsa_next_free_sgpr 32
		.amdhsa_reserve_vcc 1
		.amdhsa_reserve_flat_scratch 0
		.amdhsa_float_round_mode_32 0
		.amdhsa_float_round_mode_16_64 0
		.amdhsa_float_denorm_mode_32 3
		.amdhsa_float_denorm_mode_16_64 3
		.amdhsa_dx10_clamp 1
		.amdhsa_ieee_mode 1
		.amdhsa_fp16_overflow 0
		.amdhsa_workgroup_processor_mode 1
		.amdhsa_memory_ordered 1
		.amdhsa_forward_progress 1
		.amdhsa_shared_vgpr_count 0
		.amdhsa_exception_fp_ieee_invalid_op 0
		.amdhsa_exception_fp_denorm_src 0
		.amdhsa_exception_fp_ieee_div_zero 0
		.amdhsa_exception_fp_ieee_overflow 0
		.amdhsa_exception_fp_ieee_underflow 0
		.amdhsa_exception_fp_ieee_inexact 0
		.amdhsa_exception_int_div_zero 0
	.end_amdhsa_kernel
	.section	.text._ZN9rocsolver6v33100L16larf_left_kernelILi1024E19rocblas_complex_numIdEiPS3_EEvT1_S5_T2_lS5_lPKT0_lS6_lS5_l,"axG",@progbits,_ZN9rocsolver6v33100L16larf_left_kernelILi1024E19rocblas_complex_numIdEiPS3_EEvT1_S5_T2_lS5_lPKT0_lS6_lS5_l,comdat
.Lfunc_end20:
	.size	_ZN9rocsolver6v33100L16larf_left_kernelILi1024E19rocblas_complex_numIdEiPS3_EEvT1_S5_T2_lS5_lPKT0_lS6_lS5_l, .Lfunc_end20-_ZN9rocsolver6v33100L16larf_left_kernelILi1024E19rocblas_complex_numIdEiPS3_EEvT1_S5_T2_lS5_lPKT0_lS6_lS5_l
                                        ; -- End function
	.set _ZN9rocsolver6v33100L16larf_left_kernelILi1024E19rocblas_complex_numIdEiPS3_EEvT1_S5_T2_lS5_lPKT0_lS6_lS5_l.num_vgpr, 20
	.set _ZN9rocsolver6v33100L16larf_left_kernelILi1024E19rocblas_complex_numIdEiPS3_EEvT1_S5_T2_lS5_lPKT0_lS6_lS5_l.num_agpr, 0
	.set _ZN9rocsolver6v33100L16larf_left_kernelILi1024E19rocblas_complex_numIdEiPS3_EEvT1_S5_T2_lS5_lPKT0_lS6_lS5_l.numbered_sgpr, 32
	.set _ZN9rocsolver6v33100L16larf_left_kernelILi1024E19rocblas_complex_numIdEiPS3_EEvT1_S5_T2_lS5_lPKT0_lS6_lS5_l.num_named_barrier, 0
	.set _ZN9rocsolver6v33100L16larf_left_kernelILi1024E19rocblas_complex_numIdEiPS3_EEvT1_S5_T2_lS5_lPKT0_lS6_lS5_l.private_seg_size, 0
	.set _ZN9rocsolver6v33100L16larf_left_kernelILi1024E19rocblas_complex_numIdEiPS3_EEvT1_S5_T2_lS5_lPKT0_lS6_lS5_l.uses_vcc, 1
	.set _ZN9rocsolver6v33100L16larf_left_kernelILi1024E19rocblas_complex_numIdEiPS3_EEvT1_S5_T2_lS5_lPKT0_lS6_lS5_l.uses_flat_scratch, 0
	.set _ZN9rocsolver6v33100L16larf_left_kernelILi1024E19rocblas_complex_numIdEiPS3_EEvT1_S5_T2_lS5_lPKT0_lS6_lS5_l.has_dyn_sized_stack, 0
	.set _ZN9rocsolver6v33100L16larf_left_kernelILi1024E19rocblas_complex_numIdEiPS3_EEvT1_S5_T2_lS5_lPKT0_lS6_lS5_l.has_recursion, 0
	.set _ZN9rocsolver6v33100L16larf_left_kernelILi1024E19rocblas_complex_numIdEiPS3_EEvT1_S5_T2_lS5_lPKT0_lS6_lS5_l.has_indirect_call, 0
	.section	.AMDGPU.csdata,"",@progbits
; Kernel info:
; codeLenInByte = 2376
; TotalNumSgprs: 34
; NumVgprs: 20
; ScratchSize: 0
; MemoryBound: 0
; FloatMode: 240
; IeeeMode: 1
; LDSByteSize: 0 bytes/workgroup (compile time only)
; SGPRBlocks: 0
; VGPRBlocks: 2
; NumSGPRsForWavesPerEU: 34
; NumVGPRsForWavesPerEU: 20
; Occupancy: 16
; WaveLimiterHint : 0
; COMPUTE_PGM_RSRC2:SCRATCH_EN: 0
; COMPUTE_PGM_RSRC2:USER_SGPR: 6
; COMPUTE_PGM_RSRC2:TRAP_HANDLER: 0
; COMPUTE_PGM_RSRC2:TGID_X_EN: 1
; COMPUTE_PGM_RSRC2:TGID_Y_EN: 1
; COMPUTE_PGM_RSRC2:TGID_Z_EN: 1
; COMPUTE_PGM_RSRC2:TIDIG_COMP_CNT: 0
	.section	.text._ZN9rocsolver6v33100L17larf_right_kernelILi1024E19rocblas_complex_numIdEiPS3_EEvT1_S5_T2_lS5_lPKT0_lS6_lS5_l,"axG",@progbits,_ZN9rocsolver6v33100L17larf_right_kernelILi1024E19rocblas_complex_numIdEiPS3_EEvT1_S5_T2_lS5_lPKT0_lS6_lS5_l,comdat
	.globl	_ZN9rocsolver6v33100L17larf_right_kernelILi1024E19rocblas_complex_numIdEiPS3_EEvT1_S5_T2_lS5_lPKT0_lS6_lS5_l ; -- Begin function _ZN9rocsolver6v33100L17larf_right_kernelILi1024E19rocblas_complex_numIdEiPS3_EEvT1_S5_T2_lS5_lPKT0_lS6_lS5_l
	.p2align	8
	.type	_ZN9rocsolver6v33100L17larf_right_kernelILi1024E19rocblas_complex_numIdEiPS3_EEvT1_S5_T2_lS5_lPKT0_lS6_lS5_l,@function
_ZN9rocsolver6v33100L17larf_right_kernelILi1024E19rocblas_complex_numIdEiPS3_EEvT1_S5_T2_lS5_lPKT0_lS6_lS5_l: ; @_ZN9rocsolver6v33100L17larf_right_kernelILi1024E19rocblas_complex_numIdEiPS3_EEvT1_S5_T2_lS5_lPKT0_lS6_lS5_l
; %bb.0:
	s_clause 0x4
	s_load_dword s9, s[4:5], 0x4
	s_load_dwordx2 s[0:1], s[4:5], 0x50
	s_load_dwordx2 s[20:21], s[4:5], 0x40
	s_load_dword s6, s[4:5], 0x48
	s_load_dwordx8 s[12:19], s[4:5], 0x20
	v_mov_b32_e32 v1, 0
	v_mov_b32_e32 v3, 0
	;; [unrolled: 1-line block ×4, first 2 shown]
	v_lshlrev_b32_e32 v7, 4, v0
	s_ashr_i32 s27, s8, 31
	s_mov_b32 s10, s7
	s_ashr_i32 s11, s7, 31
	s_waitcnt lgkmcnt(0)
	v_cmp_gt_i32_e32 vcc_lo, s9, v0
	s_mul_i32 s24, s0, s27
	s_mul_hi_u32 s25, s0, s8
	s_mul_i32 s26, s1, s8
	s_mul_i32 s22, s0, s8
	s_and_saveexec_b32 s28, vcc_lo
	s_cbranch_execz .LBB21_6
; %bb.1:
	s_clause 0x1
	s_load_dword s30, s[4:5], 0x18
	s_load_dwordx4 s[0:3], s[4:5], 0x8
	s_sub_i32 s5, 1, s9
	s_mul_i32 s7, s12, s27
	s_mul_hi_u32 s29, s12, s8
	s_mul_i32 s4, s12, s8
	s_mul_i32 s33, s13, s8
	v_add3_u32 v8, v7, 0, 0x200
	v_mov_b32_e32 v4, v0
	v_mov_b32_e32 v3, v8
	s_waitcnt lgkmcnt(0)
	s_ashr_i32 s31, s30, 31
	v_mad_i64_i32 v[1:2], null, s30, v0, 0
	v_cmp_lt_i64_e64 s23, s[30:31], 1
	s_mul_i32 s5, s30, s5
	s_and_b32 s12, s23, exec_lo
	s_cselect_b32 s12, s5, 0
	s_add_i32 s5, s29, s7
	s_ashr_i32 s13, s12, 31
	s_add_i32 s5, s5, s33
	s_lshl_b64 s[12:13], s[12:13], 4
	s_lshl_b64 s[2:3], s[2:3], 4
	s_lshl_b64 s[4:5], s[4:5], 4
	v_lshlrev_b64 v[1:2], 4, v[1:2]
	s_add_u32 s0, s0, s12
	s_addc_u32 s1, s1, s13
	s_add_u32 s0, s0, s2
	s_addc_u32 s1, s1, s3
	;; [unrolled: 2-line block ×3, first 2 shown]
	v_add_co_u32 v1, s0, s0, v1
	v_add_co_ci_u32_e64 v2, null, s1, v2, s0
	s_mov_b32 s4, 0
	s_lshl_b64 s[2:3], s[30:31], 14
	.p2align	6
.LBB21_2:                               ; =>This Inner Loop Header: Depth=1
	global_load_dwordx4 v[9:12], v[1:2], off
	v_add_nc_u32_e32 v4, 0x400, v4
	v_add_co_u32 v1, s0, v1, s2
	v_add_co_ci_u32_e64 v2, null, s3, v2, s0
	v_cmp_le_i32_e64 s1, s9, v4
	s_or_b32 s4, s1, s4
	s_waitcnt vmcnt(0)
	ds_write2_b64 v3, v[9:10], v[11:12] offset1:1
	v_add_nc_u32_e32 v3, 0x4000, v3
	s_andn2_b32 exec_lo, exec_lo, s4
	s_cbranch_execnz .LBB21_2
; %bb.3:
	s_or_b32 exec_lo, exec_lo, s4
	v_mad_i64_i32 v[1:2], null, s6, v0, 0
	s_add_i32 s2, s25, s24
	s_ashr_i32 s7, s6, 31
	s_add_i32 s23, s2, s26
	s_lshl_b64 s[2:3], s[10:11], 4
	s_lshl_b64 s[0:1], s[20:21], 4
	;; [unrolled: 1-line block ×3, first 2 shown]
	v_lshlrev_b64 v[1:2], 4, v[1:2]
	s_add_u32 s2, s18, s2
	s_addc_u32 s3, s19, s3
	s_add_u32 s0, s2, s0
	s_addc_u32 s1, s3, s1
	;; [unrolled: 2-line block ×3, first 2 shown]
	v_add_co_u32 v1, s0, s0, v1
	v_add_co_ci_u32_e64 v2, null, s1, v2, s0
	v_mov_b32_e32 v3, 0
	v_add_co_u32 v5, s0, v1, 8
	v_add_co_ci_u32_e64 v6, null, 0, v2, s0
	v_mov_b32_e32 v1, 0
	v_mov_b32_e32 v2, 0
	;; [unrolled: 1-line block ×4, first 2 shown]
	s_lshl_b64 s[2:3], s[6:7], 14
	s_mov_b32 s4, 0
	.p2align	6
.LBB21_4:                               ; =>This Inner Loop Header: Depth=1
	global_load_dwordx4 v[10:13], v[5:6], off offset:-8
	ds_read2_b64 v[14:17], v8 offset1:1
	v_add_nc_u32_e32 v9, 0x400, v9
	v_add_co_u32 v5, s1, v5, s2
	v_add_nc_u32_e32 v8, 0x4000, v8
	v_add_co_ci_u32_e64 v6, null, s3, v6, s1
	v_cmp_le_i32_e64 s0, s9, v9
	s_or_b32 s4, s0, s4
	s_waitcnt vmcnt(0) lgkmcnt(0)
	v_mul_f64 v[18:19], v[16:17], v[12:13]
	v_mul_f64 v[12:13], v[14:15], v[12:13]
	v_fma_f64 v[14:15], v[14:15], v[10:11], -v[18:19]
	v_fma_f64 v[10:11], v[16:17], v[10:11], v[12:13]
	v_add_f64 v[3:4], v[3:4], v[14:15]
	v_add_f64 v[1:2], v[1:2], v[10:11]
	s_andn2_b32 exec_lo, exec_lo, s4
	s_cbranch_execnz .LBB21_4
; %bb.5:
	s_or_b32 exec_lo, exec_lo, s4
.LBB21_6:
	s_or_b32 exec_lo, exec_lo, s28
	v_mbcnt_lo_u32_b32 v10, -1, 0
	s_mov_b32 s1, exec_lo
	v_cmp_ne_u32_e64 s0, 31, v10
	v_add_co_ci_u32_e64 v5, null, 0, v10, s0
	v_cmp_gt_u32_e64 s0, 30, v10
	v_lshlrev_b32_e32 v9, 2, v5
	ds_bpermute_b32 v5, v9, v3
	ds_bpermute_b32 v6, v9, v4
	;; [unrolled: 1-line block ×4, first 2 shown]
	s_waitcnt lgkmcnt(2)
	v_add_f64 v[3:4], v[3:4], v[5:6]
	v_cndmask_b32_e64 v5, 0, 2, s0
	s_waitcnt lgkmcnt(0)
	v_add_f64 v[1:2], v[1:2], v[8:9]
	v_cmp_gt_u32_e64 s0, 28, v10
	v_add_lshl_u32 v9, v5, v10, 2
	ds_bpermute_b32 v5, v9, v3
	ds_bpermute_b32 v6, v9, v4
	;; [unrolled: 1-line block ×4, first 2 shown]
	s_waitcnt lgkmcnt(2)
	v_add_f64 v[3:4], v[3:4], v[5:6]
	v_cndmask_b32_e64 v5, 0, 4, s0
	s_waitcnt lgkmcnt(0)
	v_add_f64 v[1:2], v[1:2], v[8:9]
	v_cmp_gt_u32_e64 s0, 24, v10
	v_add_lshl_u32 v9, v5, v10, 2
	ds_bpermute_b32 v5, v9, v3
	ds_bpermute_b32 v6, v9, v4
	;; [unrolled: 1-line block ×4, first 2 shown]
	s_waitcnt lgkmcnt(2)
	v_add_f64 v[3:4], v[3:4], v[5:6]
	v_cndmask_b32_e64 v5, 0, 8, s0
	s_waitcnt lgkmcnt(0)
	v_add_f64 v[1:2], v[1:2], v[8:9]
	v_add_lshl_u32 v9, v5, v10, 2
	ds_bpermute_b32 v5, v9, v3
	ds_bpermute_b32 v6, v9, v4
	;; [unrolled: 1-line block ×4, first 2 shown]
	s_waitcnt lgkmcnt(2)
	v_add_f64 v[3:4], v[3:4], v[5:6]
	s_waitcnt lgkmcnt(0)
	v_add_f64 v[5:6], v[1:2], v[8:9]
	v_lshl_or_b32 v9, v10, 2, 64
	ds_bpermute_b32 v1, v9, v3
	ds_bpermute_b32 v2, v9, v4
	;; [unrolled: 1-line block ×4, first 2 shown]
	s_waitcnt lgkmcnt(2)
	v_add_f64 v[1:2], v[3:4], v[1:2]
	s_waitcnt lgkmcnt(0)
	v_add_f64 v[3:4], v[5:6], v[8:9]
	v_and_b32_e32 v5, 31, v0
	v_cmpx_eq_u32_e32 0, v5
; %bb.7:
	v_lshrrev_b32_e32 v5, 1, v0
	v_add_nc_u32_e32 v5, 0, v5
	ds_write2_b64 v5, v[1:2], v[3:4] offset1:1
; %bb.8:
	s_or_b32 exec_lo, exec_lo, s1
	s_mov_b32 s1, exec_lo
	s_waitcnt lgkmcnt(0)
	s_barrier
	buffer_gl0_inv
	v_cmpx_eq_u32_e32 0, v0
	s_cbranch_execz .LBB21_10
; %bb.9:
	v_mov_b32_e32 v16, 0
	ds_read2_b64 v[8:11], v16 offset0:2 offset1:3
	ds_read2_b64 v[12:15], v16 offset0:4 offset1:5
	s_waitcnt lgkmcnt(1)
	v_add_f64 v[1:2], v[1:2], v[8:9]
	v_add_f64 v[3:4], v[3:4], v[10:11]
	s_waitcnt lgkmcnt(0)
	v_add_f64 v[5:6], v[1:2], v[12:13]
	v_add_f64 v[12:13], v[3:4], v[14:15]
	ds_read2_b64 v[1:4], v16 offset0:6 offset1:7
	ds_read2_b64 v[8:11], v16 offset0:8 offset1:9
	s_waitcnt lgkmcnt(1)
	v_add_f64 v[1:2], v[5:6], v[1:2]
	v_add_f64 v[3:4], v[12:13], v[3:4]
	s_waitcnt lgkmcnt(0)
	v_add_f64 v[5:6], v[1:2], v[8:9]
	v_add_f64 v[12:13], v[3:4], v[10:11]
	;; [unrolled: 8-line block ×15, first 2 shown]
	ds_read2_b64 v[1:4], v16 offset0:62 offset1:63
	s_waitcnt lgkmcnt(0)
	v_add_f64 v[1:2], v[5:6], v[1:2]
	v_add_f64 v[3:4], v[8:9], v[3:4]
	ds_write2_b64 v16, v[1:2], v[3:4] offset1:1
.LBB21_10:
	s_or_b32 exec_lo, exec_lo, s1
	s_waitcnt lgkmcnt(0)
	s_barrier
	buffer_gl0_inv
	s_and_saveexec_b32 s0, vcc_lo
	s_cbranch_execz .LBB21_13
; %bb.11:
	s_mul_i32 s0, s16, s27
	s_mul_hi_u32 s1, s16, s8
	s_mul_i32 s2, s17, s8
	s_add_i32 s0, s1, s0
	v_mov_b32_e32 v1, 0
	s_add_i32 s1, s0, s2
	s_mul_i32 s0, s16, s8
	v_mad_i64_i32 v[10:11], null, s6, v0, 0
	s_lshl_b64 s[0:1], s[0:1], 4
	ds_read2_b64 v[3:6], v1 offset1:1
	s_add_u32 s0, s14, s0
	s_addc_u32 s1, s15, s1
	s_ashr_i32 s7, s6, 31
	s_load_dwordx4 s[0:3], s[0:1], 0x0
	s_lshl_b64 s[4:5], s[20:21], 4
	v_add3_u32 v7, v7, 0, 0x200
	s_waitcnt lgkmcnt(0)
	v_mul_f64 v[1:2], s[0:1], v[3:4]
	v_mul_f64 v[8:9], s[0:1], v[5:6]
	s_add_i32 s0, s25, s24
	s_add_i32 s23, s0, s26
	s_lshl_b64 s[0:1], s[22:23], 4
	v_fma_f64 v[1:2], s[2:3], v[5:6], -v[1:2]
	v_fma_f64 v[3:4], v[3:4], -s[2:3], -v[8:9]
	s_lshl_b64 s[2:3], s[10:11], 4
	v_lshlrev_b64 v[5:6], 4, v[10:11]
	s_add_u32 s2, s18, s2
	s_addc_u32 s3, s19, s3
	s_add_u32 s2, s2, s4
	s_addc_u32 s3, s3, s5
	;; [unrolled: 2-line block ×3, first 2 shown]
	v_add_co_u32 v5, vcc_lo, s0, v5
	v_add_co_ci_u32_e64 v6, null, s1, v6, vcc_lo
	s_mov_b32 s1, 0
	v_add_co_u32 v5, vcc_lo, v5, 8
	v_add_co_ci_u32_e64 v6, null, 0, v6, vcc_lo
	s_lshl_b64 s[2:3], s[6:7], 14
	.p2align	6
.LBB21_12:                              ; =>This Inner Loop Header: Depth=1
	global_load_dwordx4 v[8:11], v[5:6], off offset:-8
	ds_read2_b64 v[12:15], v7 offset1:1
	v_add_nc_u32_e32 v0, 0x400, v0
	v_add_nc_u32_e32 v7, 0x4000, v7
	v_cmp_le_i32_e32 vcc_lo, s9, v0
	s_or_b32 s1, vcc_lo, s1
	s_waitcnt lgkmcnt(0)
	v_mul_f64 v[16:17], v[3:4], v[14:15]
	v_mul_f64 v[14:15], v[1:2], v[14:15]
	v_fma_f64 v[16:17], v[1:2], v[12:13], v[16:17]
	v_fma_f64 v[12:13], v[3:4], v[12:13], -v[14:15]
	s_waitcnt vmcnt(0)
	v_add_f64 v[8:9], v[8:9], v[16:17]
	v_add_f64 v[10:11], v[12:13], v[10:11]
	global_store_dwordx4 v[5:6], v[8:11], off offset:-8
	v_add_co_u32 v5, s0, v5, s2
	v_add_co_ci_u32_e64 v6, null, s3, v6, s0
	s_andn2_b32 exec_lo, exec_lo, s1
	s_cbranch_execnz .LBB21_12
.LBB21_13:
	s_endpgm
	.section	.rodata,"a",@progbits
	.p2align	6, 0x0
	.amdhsa_kernel _ZN9rocsolver6v33100L17larf_right_kernelILi1024E19rocblas_complex_numIdEiPS3_EEvT1_S5_T2_lS5_lPKT0_lS6_lS5_l
		.amdhsa_group_segment_fixed_size 0
		.amdhsa_private_segment_fixed_size 0
		.amdhsa_kernarg_size 88
		.amdhsa_user_sgpr_count 6
		.amdhsa_user_sgpr_private_segment_buffer 1
		.amdhsa_user_sgpr_dispatch_ptr 0
		.amdhsa_user_sgpr_queue_ptr 0
		.amdhsa_user_sgpr_kernarg_segment_ptr 1
		.amdhsa_user_sgpr_dispatch_id 0
		.amdhsa_user_sgpr_flat_scratch_init 0
		.amdhsa_user_sgpr_private_segment_size 0
		.amdhsa_wavefront_size32 1
		.amdhsa_uses_dynamic_stack 0
		.amdhsa_system_sgpr_private_segment_wavefront_offset 0
		.amdhsa_system_sgpr_workgroup_id_x 1
		.amdhsa_system_sgpr_workgroup_id_y 1
		.amdhsa_system_sgpr_workgroup_id_z 1
		.amdhsa_system_sgpr_workgroup_info 0
		.amdhsa_system_vgpr_workitem_id 0
		.amdhsa_next_free_vgpr 20
		.amdhsa_next_free_sgpr 34
		.amdhsa_reserve_vcc 1
		.amdhsa_reserve_flat_scratch 0
		.amdhsa_float_round_mode_32 0
		.amdhsa_float_round_mode_16_64 0
		.amdhsa_float_denorm_mode_32 3
		.amdhsa_float_denorm_mode_16_64 3
		.amdhsa_dx10_clamp 1
		.amdhsa_ieee_mode 1
		.amdhsa_fp16_overflow 0
		.amdhsa_workgroup_processor_mode 1
		.amdhsa_memory_ordered 1
		.amdhsa_forward_progress 1
		.amdhsa_shared_vgpr_count 0
		.amdhsa_exception_fp_ieee_invalid_op 0
		.amdhsa_exception_fp_denorm_src 0
		.amdhsa_exception_fp_ieee_div_zero 0
		.amdhsa_exception_fp_ieee_overflow 0
		.amdhsa_exception_fp_ieee_underflow 0
		.amdhsa_exception_fp_ieee_inexact 0
		.amdhsa_exception_int_div_zero 0
	.end_amdhsa_kernel
	.section	.text._ZN9rocsolver6v33100L17larf_right_kernelILi1024E19rocblas_complex_numIdEiPS3_EEvT1_S5_T2_lS5_lPKT0_lS6_lS5_l,"axG",@progbits,_ZN9rocsolver6v33100L17larf_right_kernelILi1024E19rocblas_complex_numIdEiPS3_EEvT1_S5_T2_lS5_lPKT0_lS6_lS5_l,comdat
.Lfunc_end21:
	.size	_ZN9rocsolver6v33100L17larf_right_kernelILi1024E19rocblas_complex_numIdEiPS3_EEvT1_S5_T2_lS5_lPKT0_lS6_lS5_l, .Lfunc_end21-_ZN9rocsolver6v33100L17larf_right_kernelILi1024E19rocblas_complex_numIdEiPS3_EEvT1_S5_T2_lS5_lPKT0_lS6_lS5_l
                                        ; -- End function
	.set _ZN9rocsolver6v33100L17larf_right_kernelILi1024E19rocblas_complex_numIdEiPS3_EEvT1_S5_T2_lS5_lPKT0_lS6_lS5_l.num_vgpr, 20
	.set _ZN9rocsolver6v33100L17larf_right_kernelILi1024E19rocblas_complex_numIdEiPS3_EEvT1_S5_T2_lS5_lPKT0_lS6_lS5_l.num_agpr, 0
	.set _ZN9rocsolver6v33100L17larf_right_kernelILi1024E19rocblas_complex_numIdEiPS3_EEvT1_S5_T2_lS5_lPKT0_lS6_lS5_l.numbered_sgpr, 34
	.set _ZN9rocsolver6v33100L17larf_right_kernelILi1024E19rocblas_complex_numIdEiPS3_EEvT1_S5_T2_lS5_lPKT0_lS6_lS5_l.num_named_barrier, 0
	.set _ZN9rocsolver6v33100L17larf_right_kernelILi1024E19rocblas_complex_numIdEiPS3_EEvT1_S5_T2_lS5_lPKT0_lS6_lS5_l.private_seg_size, 0
	.set _ZN9rocsolver6v33100L17larf_right_kernelILi1024E19rocblas_complex_numIdEiPS3_EEvT1_S5_T2_lS5_lPKT0_lS6_lS5_l.uses_vcc, 1
	.set _ZN9rocsolver6v33100L17larf_right_kernelILi1024E19rocblas_complex_numIdEiPS3_EEvT1_S5_T2_lS5_lPKT0_lS6_lS5_l.uses_flat_scratch, 0
	.set _ZN9rocsolver6v33100L17larf_right_kernelILi1024E19rocblas_complex_numIdEiPS3_EEvT1_S5_T2_lS5_lPKT0_lS6_lS5_l.has_dyn_sized_stack, 0
	.set _ZN9rocsolver6v33100L17larf_right_kernelILi1024E19rocblas_complex_numIdEiPS3_EEvT1_S5_T2_lS5_lPKT0_lS6_lS5_l.has_recursion, 0
	.set _ZN9rocsolver6v33100L17larf_right_kernelILi1024E19rocblas_complex_numIdEiPS3_EEvT1_S5_T2_lS5_lPKT0_lS6_lS5_l.has_indirect_call, 0
	.section	.AMDGPU.csdata,"",@progbits
; Kernel info:
; codeLenInByte = 2436
; TotalNumSgprs: 36
; NumVgprs: 20
; ScratchSize: 0
; MemoryBound: 0
; FloatMode: 240
; IeeeMode: 1
; LDSByteSize: 0 bytes/workgroup (compile time only)
; SGPRBlocks: 0
; VGPRBlocks: 2
; NumSGPRsForWavesPerEU: 36
; NumVGPRsForWavesPerEU: 20
; Occupancy: 16
; WaveLimiterHint : 0
; COMPUTE_PGM_RSRC2:SCRATCH_EN: 0
; COMPUTE_PGM_RSRC2:USER_SGPR: 6
; COMPUTE_PGM_RSRC2:TRAP_HANDLER: 0
; COMPUTE_PGM_RSRC2:TGID_X_EN: 1
; COMPUTE_PGM_RSRC2:TGID_Y_EN: 1
; COMPUTE_PGM_RSRC2:TGID_Z_EN: 1
; COMPUTE_PGM_RSRC2:TIDIG_COMP_CNT: 0
	.section	.text._ZN9rocsolver6v33100L12subtract_tauI19rocblas_complex_numIdEPS3_EEviiT0_iilPT_l,"axG",@progbits,_ZN9rocsolver6v33100L12subtract_tauI19rocblas_complex_numIdEPS3_EEviiT0_iilPT_l,comdat
	.globl	_ZN9rocsolver6v33100L12subtract_tauI19rocblas_complex_numIdEPS3_EEviiT0_iilPT_l ; -- Begin function _ZN9rocsolver6v33100L12subtract_tauI19rocblas_complex_numIdEPS3_EEviiT0_iilPT_l
	.p2align	8
	.type	_ZN9rocsolver6v33100L12subtract_tauI19rocblas_complex_numIdEPS3_EEviiT0_iilPT_l,@function
_ZN9rocsolver6v33100L12subtract_tauI19rocblas_complex_numIdEPS3_EEviiT0_iilPT_l: ; @_ZN9rocsolver6v33100L12subtract_tauI19rocblas_complex_numIdEPS3_EEviiT0_iilPT_l
; %bb.0:
	s_clause 0x3
	s_load_dwordx2 s[12:13], s[4:5], 0x10
	s_load_dwordx4 s[8:11], s[4:5], 0x18
	s_load_dwordx2 s[14:15], s[4:5], 0x28
	s_load_dwordx4 s[0:3], s[4:5], 0x0
	v_mov_b32_e32 v4, 0
	s_waitcnt lgkmcnt(0)
	s_ashr_i32 s5, s12, 31
	s_mul_i32 s7, s9, s6
	s_mul_hi_u32 s9, s8, s6
	s_mul_i32 s8, s8, s6
	s_add_i32 s9, s9, s7
	s_mov_b32 s4, s12
	s_lshl_b64 s[8:9], s[8:9], 4
	s_mul_i32 s7, s15, s6
	s_add_u32 s8, s2, s8
	s_addc_u32 s9, s3, s9
	s_lshl_b64 s[2:3], s[4:5], 4
	s_mul_hi_u32 s12, s14, s6
	s_add_u32 s8, s8, s2
	s_mul_i32 s4, s14, s6
	s_addc_u32 s9, s9, s3
	s_add_i32 s5, s12, s7
	s_mul_i32 s1, s13, s1
	s_lshl_b64 s[2:3], s[4:5], 4
	s_add_u32 s2, s10, s2
	s_addc_u32 s3, s11, s3
	s_add_i32 s0, s1, s0
	s_load_dwordx4 s[4:7], s[2:3], 0x0
	s_ashr_i32 s1, s0, 31
	s_lshl_b64 s[0:1], s[0:1], 4
	s_waitcnt lgkmcnt(0)
	s_xor_b32 s10, s5, 0x80000000
	s_xor_b32 s7, s7, 0x80000000
	v_mov_b32_e32 v0, s4
	v_mov_b32_e32 v2, s6
	;; [unrolled: 1-line block ×4, first 2 shown]
	s_add_u32 s0, s8, s0
	s_addc_u32 s1, s9, s1
	global_store_dwordx4 v4, v[0:3], s[2:3]
	v_add_f64 v[0:1], -s[4:5], 1.0
	global_store_dwordx4 v4, v[0:3], s[0:1]
	s_endpgm
	.section	.rodata,"a",@progbits
	.p2align	6, 0x0
	.amdhsa_kernel _ZN9rocsolver6v33100L12subtract_tauI19rocblas_complex_numIdEPS3_EEviiT0_iilPT_l
		.amdhsa_group_segment_fixed_size 0
		.amdhsa_private_segment_fixed_size 0
		.amdhsa_kernarg_size 48
		.amdhsa_user_sgpr_count 6
		.amdhsa_user_sgpr_private_segment_buffer 1
		.amdhsa_user_sgpr_dispatch_ptr 0
		.amdhsa_user_sgpr_queue_ptr 0
		.amdhsa_user_sgpr_kernarg_segment_ptr 1
		.amdhsa_user_sgpr_dispatch_id 0
		.amdhsa_user_sgpr_flat_scratch_init 0
		.amdhsa_user_sgpr_private_segment_size 0
		.amdhsa_wavefront_size32 1
		.amdhsa_uses_dynamic_stack 0
		.amdhsa_system_sgpr_private_segment_wavefront_offset 0
		.amdhsa_system_sgpr_workgroup_id_x 1
		.amdhsa_system_sgpr_workgroup_id_y 0
		.amdhsa_system_sgpr_workgroup_id_z 0
		.amdhsa_system_sgpr_workgroup_info 0
		.amdhsa_system_vgpr_workitem_id 0
		.amdhsa_next_free_vgpr 5
		.amdhsa_next_free_sgpr 16
		.amdhsa_reserve_vcc 0
		.amdhsa_reserve_flat_scratch 0
		.amdhsa_float_round_mode_32 0
		.amdhsa_float_round_mode_16_64 0
		.amdhsa_float_denorm_mode_32 3
		.amdhsa_float_denorm_mode_16_64 3
		.amdhsa_dx10_clamp 1
		.amdhsa_ieee_mode 1
		.amdhsa_fp16_overflow 0
		.amdhsa_workgroup_processor_mode 1
		.amdhsa_memory_ordered 1
		.amdhsa_forward_progress 1
		.amdhsa_shared_vgpr_count 0
		.amdhsa_exception_fp_ieee_invalid_op 0
		.amdhsa_exception_fp_denorm_src 0
		.amdhsa_exception_fp_ieee_div_zero 0
		.amdhsa_exception_fp_ieee_overflow 0
		.amdhsa_exception_fp_ieee_underflow 0
		.amdhsa_exception_fp_ieee_inexact 0
		.amdhsa_exception_int_div_zero 0
	.end_amdhsa_kernel
	.section	.text._ZN9rocsolver6v33100L12subtract_tauI19rocblas_complex_numIdEPS3_EEviiT0_iilPT_l,"axG",@progbits,_ZN9rocsolver6v33100L12subtract_tauI19rocblas_complex_numIdEPS3_EEviiT0_iilPT_l,comdat
.Lfunc_end22:
	.size	_ZN9rocsolver6v33100L12subtract_tauI19rocblas_complex_numIdEPS3_EEviiT0_iilPT_l, .Lfunc_end22-_ZN9rocsolver6v33100L12subtract_tauI19rocblas_complex_numIdEPS3_EEviiT0_iilPT_l
                                        ; -- End function
	.set _ZN9rocsolver6v33100L12subtract_tauI19rocblas_complex_numIdEPS3_EEviiT0_iilPT_l.num_vgpr, 5
	.set _ZN9rocsolver6v33100L12subtract_tauI19rocblas_complex_numIdEPS3_EEviiT0_iilPT_l.num_agpr, 0
	.set _ZN9rocsolver6v33100L12subtract_tauI19rocblas_complex_numIdEPS3_EEviiT0_iilPT_l.numbered_sgpr, 16
	.set _ZN9rocsolver6v33100L12subtract_tauI19rocblas_complex_numIdEPS3_EEviiT0_iilPT_l.num_named_barrier, 0
	.set _ZN9rocsolver6v33100L12subtract_tauI19rocblas_complex_numIdEPS3_EEviiT0_iilPT_l.private_seg_size, 0
	.set _ZN9rocsolver6v33100L12subtract_tauI19rocblas_complex_numIdEPS3_EEviiT0_iilPT_l.uses_vcc, 0
	.set _ZN9rocsolver6v33100L12subtract_tauI19rocblas_complex_numIdEPS3_EEviiT0_iilPT_l.uses_flat_scratch, 0
	.set _ZN9rocsolver6v33100L12subtract_tauI19rocblas_complex_numIdEPS3_EEviiT0_iilPT_l.has_dyn_sized_stack, 0
	.set _ZN9rocsolver6v33100L12subtract_tauI19rocblas_complex_numIdEPS3_EEviiT0_iilPT_l.has_recursion, 0
	.set _ZN9rocsolver6v33100L12subtract_tauI19rocblas_complex_numIdEPS3_EEviiT0_iilPT_l.has_indirect_call, 0
	.section	.AMDGPU.csdata,"",@progbits
; Kernel info:
; codeLenInByte = 216
; TotalNumSgprs: 16
; NumVgprs: 5
; ScratchSize: 0
; MemoryBound: 0
; FloatMode: 240
; IeeeMode: 1
; LDSByteSize: 0 bytes/workgroup (compile time only)
; SGPRBlocks: 0
; VGPRBlocks: 0
; NumSGPRsForWavesPerEU: 16
; NumVGPRsForWavesPerEU: 5
; Occupancy: 16
; WaveLimiterHint : 0
; COMPUTE_PGM_RSRC2:SCRATCH_EN: 0
; COMPUTE_PGM_RSRC2:USER_SGPR: 6
; COMPUTE_PGM_RSRC2:TRAP_HANDLER: 0
; COMPUTE_PGM_RSRC2:TGID_X_EN: 1
; COMPUTE_PGM_RSRC2:TGID_Y_EN: 0
; COMPUTE_PGM_RSRC2:TGID_Z_EN: 0
; COMPUTE_PGM_RSRC2:TIDIG_COMP_CNT: 0
	.section	.text._ZN9rocsolver6v33100L6restauI19rocblas_complex_numIdEEEviPT_l,"axG",@progbits,_ZN9rocsolver6v33100L6restauI19rocblas_complex_numIdEEEviPT_l,comdat
	.globl	_ZN9rocsolver6v33100L6restauI19rocblas_complex_numIdEEEviPT_l ; -- Begin function _ZN9rocsolver6v33100L6restauI19rocblas_complex_numIdEEEviPT_l
	.p2align	8
	.type	_ZN9rocsolver6v33100L6restauI19rocblas_complex_numIdEEEviPT_l,@function
_ZN9rocsolver6v33100L6restauI19rocblas_complex_numIdEEEviPT_l: ; @_ZN9rocsolver6v33100L6restauI19rocblas_complex_numIdEEEviPT_l
; %bb.0:
	s_clause 0x1
	s_load_dword s0, s[4:5], 0x24
	s_load_dword s1, s[4:5], 0x0
	s_waitcnt lgkmcnt(0)
	s_and_b32 s0, s0, 0xffff
	v_mad_u64_u32 v[0:1], null, s6, s0, v[0:1]
	s_mov_b32 s0, exec_lo
	v_cmpx_gt_u32_e64 s1, v0
	s_cbranch_execz .LBB23_2
; %bb.1:
	s_load_dwordx4 s[0:3], s[4:5], 0x8
	v_mov_b32_e32 v1, 0
	v_lshlrev_b64 v[0:1], 4, v[0:1]
	s_waitcnt lgkmcnt(0)
	s_mul_i32 s3, s3, s7
	s_mul_hi_u32 s4, s2, s7
	s_mul_i32 s2, s2, s7
	s_add_i32 s3, s4, s3
	s_lshl_b64 s[2:3], s[2:3], 4
	s_add_u32 s0, s0, s2
	s_addc_u32 s1, s1, s3
	v_add_co_u32 v4, vcc_lo, s0, v0
	v_add_co_ci_u32_e64 v5, null, s1, v1, vcc_lo
	global_load_dwordx4 v[0:3], v[4:5], off
	s_waitcnt vmcnt(0)
	v_xor_b32_e32 v1, 0x80000000, v1
	v_xor_b32_e32 v3, 0x80000000, v3
	global_store_dwordx4 v[4:5], v[0:3], off
.LBB23_2:
	s_endpgm
	.section	.rodata,"a",@progbits
	.p2align	6, 0x0
	.amdhsa_kernel _ZN9rocsolver6v33100L6restauI19rocblas_complex_numIdEEEviPT_l
		.amdhsa_group_segment_fixed_size 0
		.amdhsa_private_segment_fixed_size 0
		.amdhsa_kernarg_size 280
		.amdhsa_user_sgpr_count 6
		.amdhsa_user_sgpr_private_segment_buffer 1
		.amdhsa_user_sgpr_dispatch_ptr 0
		.amdhsa_user_sgpr_queue_ptr 0
		.amdhsa_user_sgpr_kernarg_segment_ptr 1
		.amdhsa_user_sgpr_dispatch_id 0
		.amdhsa_user_sgpr_flat_scratch_init 0
		.amdhsa_user_sgpr_private_segment_size 0
		.amdhsa_wavefront_size32 1
		.amdhsa_uses_dynamic_stack 0
		.amdhsa_system_sgpr_private_segment_wavefront_offset 0
		.amdhsa_system_sgpr_workgroup_id_x 1
		.amdhsa_system_sgpr_workgroup_id_y 1
		.amdhsa_system_sgpr_workgroup_id_z 0
		.amdhsa_system_sgpr_workgroup_info 0
		.amdhsa_system_vgpr_workitem_id 0
		.amdhsa_next_free_vgpr 6
		.amdhsa_next_free_sgpr 8
		.amdhsa_reserve_vcc 1
		.amdhsa_reserve_flat_scratch 0
		.amdhsa_float_round_mode_32 0
		.amdhsa_float_round_mode_16_64 0
		.amdhsa_float_denorm_mode_32 3
		.amdhsa_float_denorm_mode_16_64 3
		.amdhsa_dx10_clamp 1
		.amdhsa_ieee_mode 1
		.amdhsa_fp16_overflow 0
		.amdhsa_workgroup_processor_mode 1
		.amdhsa_memory_ordered 1
		.amdhsa_forward_progress 1
		.amdhsa_shared_vgpr_count 0
		.amdhsa_exception_fp_ieee_invalid_op 0
		.amdhsa_exception_fp_denorm_src 0
		.amdhsa_exception_fp_ieee_div_zero 0
		.amdhsa_exception_fp_ieee_overflow 0
		.amdhsa_exception_fp_ieee_underflow 0
		.amdhsa_exception_fp_ieee_inexact 0
		.amdhsa_exception_int_div_zero 0
	.end_amdhsa_kernel
	.section	.text._ZN9rocsolver6v33100L6restauI19rocblas_complex_numIdEEEviPT_l,"axG",@progbits,_ZN9rocsolver6v33100L6restauI19rocblas_complex_numIdEEEviPT_l,comdat
.Lfunc_end23:
	.size	_ZN9rocsolver6v33100L6restauI19rocblas_complex_numIdEEEviPT_l, .Lfunc_end23-_ZN9rocsolver6v33100L6restauI19rocblas_complex_numIdEEEviPT_l
                                        ; -- End function
	.set _ZN9rocsolver6v33100L6restauI19rocblas_complex_numIdEEEviPT_l.num_vgpr, 6
	.set _ZN9rocsolver6v33100L6restauI19rocblas_complex_numIdEEEviPT_l.num_agpr, 0
	.set _ZN9rocsolver6v33100L6restauI19rocblas_complex_numIdEEEviPT_l.numbered_sgpr, 8
	.set _ZN9rocsolver6v33100L6restauI19rocblas_complex_numIdEEEviPT_l.num_named_barrier, 0
	.set _ZN9rocsolver6v33100L6restauI19rocblas_complex_numIdEEEviPT_l.private_seg_size, 0
	.set _ZN9rocsolver6v33100L6restauI19rocblas_complex_numIdEEEviPT_l.uses_vcc, 1
	.set _ZN9rocsolver6v33100L6restauI19rocblas_complex_numIdEEEviPT_l.uses_flat_scratch, 0
	.set _ZN9rocsolver6v33100L6restauI19rocblas_complex_numIdEEEviPT_l.has_dyn_sized_stack, 0
	.set _ZN9rocsolver6v33100L6restauI19rocblas_complex_numIdEEEviPT_l.has_recursion, 0
	.set _ZN9rocsolver6v33100L6restauI19rocblas_complex_numIdEEEviPT_l.has_indirect_call, 0
	.section	.AMDGPU.csdata,"",@progbits
; Kernel info:
; codeLenInByte = 164
; TotalNumSgprs: 10
; NumVgprs: 6
; ScratchSize: 0
; MemoryBound: 0
; FloatMode: 240
; IeeeMode: 1
; LDSByteSize: 0 bytes/workgroup (compile time only)
; SGPRBlocks: 0
; VGPRBlocks: 0
; NumSGPRsForWavesPerEU: 10
; NumVGPRsForWavesPerEU: 6
; Occupancy: 16
; WaveLimiterHint : 0
; COMPUTE_PGM_RSRC2:SCRATCH_EN: 0
; COMPUTE_PGM_RSRC2:USER_SGPR: 6
; COMPUTE_PGM_RSRC2:TRAP_HANDLER: 0
; COMPUTE_PGM_RSRC2:TGID_X_EN: 1
; COMPUTE_PGM_RSRC2:TGID_Y_EN: 1
; COMPUTE_PGM_RSRC2:TGID_Z_EN: 0
; COMPUTE_PGM_RSRC2:TIDIG_COMP_CNT: 0
	.section	.AMDGPU.gpr_maximums,"",@progbits
	.set amdgpu.max_num_vgpr, 0
	.set amdgpu.max_num_agpr, 0
	.set amdgpu.max_num_sgpr, 0
	.section	.AMDGPU.csdata,"",@progbits
	.type	__hip_cuid_6e251b9a7c95b852,@object ; @__hip_cuid_6e251b9a7c95b852
	.section	.bss,"aw",@nobits
	.globl	__hip_cuid_6e251b9a7c95b852
__hip_cuid_6e251b9a7c95b852:
	.byte	0                               ; 0x0
	.size	__hip_cuid_6e251b9a7c95b852, 1

	.ident	"AMD clang version 22.0.0git (https://github.com/RadeonOpenCompute/llvm-project roc-7.2.4 26084 f58b06dce1f9c15707c5f808fd002e18c2accf7e)"
	.section	".note.GNU-stack","",@progbits
	.addrsig
	.addrsig_sym __hip_cuid_6e251b9a7c95b852
	.amdgpu_metadata
---
amdhsa.kernels:
  - .args:
      - .address_space:  global
        .offset:         0
        .size:           8
        .value_kind:     global_buffer
      - .offset:         8
        .size:           4
        .value_kind:     by_value
      - .offset:         12
        .size:           4
        .value_kind:     by_value
    .group_segment_fixed_size: 0
    .kernarg_segment_align: 8
    .kernarg_segment_size: 16
    .language:       OpenCL C
    .language_version:
      - 2
      - 0
    .max_flat_workgroup_size: 32
    .name:           _ZN9rocsolver6v33100L6iota_nIfEEvPT_jS2_
    .private_segment_fixed_size: 0
    .sgpr_count:     8
    .sgpr_spill_count: 0
    .symbol:         _ZN9rocsolver6v33100L6iota_nIfEEvPT_jS2_.kd
    .uniform_work_group_size: 1
    .uses_dynamic_stack: false
    .vgpr_count:     2
    .vgpr_spill_count: 0
    .wavefront_size: 32
    .workgroup_processor_mode: 1
  - .args:
      - .offset:         0
        .size:           4
        .value_kind:     by_value
      - .offset:         4
        .size:           4
        .value_kind:     by_value
      - .offset:         8
        .size:           4
        .value_kind:     by_value
      - .address_space:  global
        .offset:         16
        .size:           8
        .value_kind:     global_buffer
      - .offset:         24
        .size:           4
        .value_kind:     by_value
      - .offset:         28
        .size:           4
        .value_kind:     by_value
      - .offset:         32
        .size:           8
        .value_kind:     by_value
      - .offset:         40
        .size:           4
        .value_kind:     hidden_block_count_x
      - .offset:         44
        .size:           4
        .value_kind:     hidden_block_count_y
      - .offset:         48
        .size:           4
        .value_kind:     hidden_block_count_z
      - .offset:         52
        .size:           2
        .value_kind:     hidden_group_size_x
      - .offset:         54
        .size:           2
        .value_kind:     hidden_group_size_y
      - .offset:         56
        .size:           2
        .value_kind:     hidden_group_size_z
      - .offset:         58
        .size:           2
        .value_kind:     hidden_remainder_x
      - .offset:         60
        .size:           2
        .value_kind:     hidden_remainder_y
      - .offset:         62
        .size:           2
        .value_kind:     hidden_remainder_z
      - .offset:         80
        .size:           8
        .value_kind:     hidden_global_offset_x
      - .offset:         88
        .size:           8
        .value_kind:     hidden_global_offset_y
      - .offset:         96
        .size:           8
        .value_kind:     hidden_global_offset_z
      - .offset:         104
        .size:           2
        .value_kind:     hidden_grid_dims
    .group_segment_fixed_size: 0
    .kernarg_segment_align: 8
    .kernarg_segment_size: 296
    .language:       OpenCL C
    .language_version:
      - 2
      - 0
    .max_flat_workgroup_size: 1024
    .name:           _ZN9rocsolver6v33100L16org2l_init_identIfPfEEviiiT0_iil
    .private_segment_fixed_size: 0
    .sgpr_count:     18
    .sgpr_spill_count: 0
    .symbol:         _ZN9rocsolver6v33100L16org2l_init_identIfPfEEviiiT0_iil.kd
    .uniform_work_group_size: 1
    .uses_dynamic_stack: false
    .vgpr_count:     4
    .vgpr_spill_count: 0
    .wavefront_size: 32
    .workgroup_processor_mode: 1
  - .args:
      - .offset:         0
        .size:           4
        .value_kind:     by_value
      - .offset:         4
        .size:           4
        .value_kind:     by_value
      - .address_space:  global
        .offset:         8
        .size:           8
        .value_kind:     global_buffer
      - .offset:         16
        .size:           8
        .value_kind:     by_value
      - .offset:         24
        .size:           4
        .value_kind:     by_value
      - .offset:         32
        .size:           8
        .value_kind:     by_value
      - .address_space:  global
        .offset:         40
        .size:           8
        .value_kind:     global_buffer
      - .offset:         48
        .size:           8
        .value_kind:     by_value
      - .address_space:  global
        .offset:         56
        .size:           8
        .value_kind:     global_buffer
      - .offset:         64
        .size:           8
        .value_kind:     by_value
      - .offset:         72
        .size:           4
        .value_kind:     by_value
      - .offset:         80
        .size:           8
        .value_kind:     by_value
    .group_segment_fixed_size: 0
    .kernarg_segment_align: 8
    .kernarg_segment_size: 88
    .language:       OpenCL C
    .language_version:
      - 2
      - 0
    .max_flat_workgroup_size: 1024
    .name:           _ZN9rocsolver6v33100L16larf_left_kernelILi1024EfiPfEEvT1_S3_T2_lS3_lPKT0_lS4_lS3_l
    .private_segment_fixed_size: 0
    .sgpr_count:     34
    .sgpr_spill_count: 0
    .symbol:         _ZN9rocsolver6v33100L16larf_left_kernelILi1024EfiPfEEvT1_S3_T2_lS3_lPKT0_lS4_lS3_l.kd
    .uniform_work_group_size: 1
    .uses_dynamic_stack: false
    .vgpr_count:     13
    .vgpr_spill_count: 0
    .wavefront_size: 32
    .workgroup_processor_mode: 1
  - .args:
      - .offset:         0
        .size:           4
        .value_kind:     by_value
      - .offset:         4
        .size:           4
        .value_kind:     by_value
      - .address_space:  global
        .offset:         8
        .size:           8
        .value_kind:     global_buffer
      - .offset:         16
        .size:           8
        .value_kind:     by_value
      - .offset:         24
        .size:           4
        .value_kind:     by_value
      - .offset:         32
        .size:           8
        .value_kind:     by_value
      - .address_space:  global
        .offset:         40
        .size:           8
        .value_kind:     global_buffer
      - .offset:         48
        .size:           8
        .value_kind:     by_value
      - .address_space:  global
        .offset:         56
        .size:           8
        .value_kind:     global_buffer
      - .offset:         64
        .size:           8
        .value_kind:     by_value
      - .offset:         72
        .size:           4
        .value_kind:     by_value
      - .offset:         80
        .size:           8
        .value_kind:     by_value
    .group_segment_fixed_size: 0
    .kernarg_segment_align: 8
    .kernarg_segment_size: 88
    .language:       OpenCL C
    .language_version:
      - 2
      - 0
    .max_flat_workgroup_size: 1024
    .name:           _ZN9rocsolver6v33100L17larf_right_kernelILi1024EfiPfEEvT1_S3_T2_lS3_lPKT0_lS4_lS3_l
    .private_segment_fixed_size: 0
    .sgpr_count:     36
    .sgpr_spill_count: 0
    .symbol:         _ZN9rocsolver6v33100L17larf_right_kernelILi1024EfiPfEEvT1_S3_T2_lS3_lPKT0_lS4_lS3_l.kd
    .uniform_work_group_size: 1
    .uses_dynamic_stack: false
    .vgpr_count:     13
    .vgpr_spill_count: 0
    .wavefront_size: 32
    .workgroup_processor_mode: 1
  - .args:
      - .offset:         0
        .size:           4
        .value_kind:     by_value
      - .offset:         4
        .size:           4
        .value_kind:     by_value
      - .address_space:  global
        .offset:         8
        .size:           8
        .value_kind:     global_buffer
      - .offset:         16
        .size:           4
        .value_kind:     by_value
      - .offset:         20
        .size:           4
        .value_kind:     by_value
      - .offset:         24
        .size:           8
        .value_kind:     by_value
      - .address_space:  global
        .offset:         32
        .size:           8
        .value_kind:     global_buffer
      - .offset:         40
        .size:           8
        .value_kind:     by_value
    .group_segment_fixed_size: 0
    .kernarg_segment_align: 8
    .kernarg_segment_size: 48
    .language:       OpenCL C
    .language_version:
      - 2
      - 0
    .max_flat_workgroup_size: 1024
    .name:           _ZN9rocsolver6v33100L12subtract_tauIfPfEEviiT0_iilPT_l
    .private_segment_fixed_size: 0
    .sgpr_count:     16
    .sgpr_spill_count: 0
    .symbol:         _ZN9rocsolver6v33100L12subtract_tauIfPfEEviiT0_iilPT_l.kd
    .uniform_work_group_size: 1
    .uses_dynamic_stack: false
    .vgpr_count:     3
    .vgpr_spill_count: 0
    .wavefront_size: 32
    .workgroup_processor_mode: 1
  - .args:
      - .offset:         0
        .size:           4
        .value_kind:     by_value
      - .address_space:  global
        .offset:         8
        .size:           8
        .value_kind:     global_buffer
      - .offset:         16
        .size:           8
        .value_kind:     by_value
      - .offset:         24
        .size:           4
        .value_kind:     hidden_block_count_x
      - .offset:         28
        .size:           4
        .value_kind:     hidden_block_count_y
      - .offset:         32
        .size:           4
        .value_kind:     hidden_block_count_z
      - .offset:         36
        .size:           2
        .value_kind:     hidden_group_size_x
      - .offset:         38
        .size:           2
        .value_kind:     hidden_group_size_y
      - .offset:         40
        .size:           2
        .value_kind:     hidden_group_size_z
      - .offset:         42
        .size:           2
        .value_kind:     hidden_remainder_x
      - .offset:         44
        .size:           2
        .value_kind:     hidden_remainder_y
      - .offset:         46
        .size:           2
        .value_kind:     hidden_remainder_z
      - .offset:         64
        .size:           8
        .value_kind:     hidden_global_offset_x
      - .offset:         72
        .size:           8
        .value_kind:     hidden_global_offset_y
      - .offset:         80
        .size:           8
        .value_kind:     hidden_global_offset_z
      - .offset:         88
        .size:           2
        .value_kind:     hidden_grid_dims
    .group_segment_fixed_size: 0
    .kernarg_segment_align: 8
    .kernarg_segment_size: 280
    .language:       OpenCL C
    .language_version:
      - 2
      - 0
    .max_flat_workgroup_size: 1024
    .name:           _ZN9rocsolver6v33100L6restauIfEEviPT_l
    .private_segment_fixed_size: 0
    .sgpr_count:     10
    .sgpr_spill_count: 0
    .symbol:         _ZN9rocsolver6v33100L6restauIfEEviPT_l.kd
    .uniform_work_group_size: 1
    .uses_dynamic_stack: false
    .vgpr_count:     3
    .vgpr_spill_count: 0
    .wavefront_size: 32
    .workgroup_processor_mode: 1
  - .args:
      - .address_space:  global
        .offset:         0
        .size:           8
        .value_kind:     global_buffer
      - .offset:         8
        .size:           4
        .value_kind:     by_value
      - .offset:         16
        .size:           8
        .value_kind:     by_value
    .group_segment_fixed_size: 0
    .kernarg_segment_align: 8
    .kernarg_segment_size: 24
    .language:       OpenCL C
    .language_version:
      - 2
      - 0
    .max_flat_workgroup_size: 32
    .name:           _ZN9rocsolver6v33100L6iota_nIdEEvPT_jS2_
    .private_segment_fixed_size: 0
    .sgpr_count:     8
    .sgpr_spill_count: 0
    .symbol:         _ZN9rocsolver6v33100L6iota_nIdEEvPT_jS2_.kd
    .uniform_work_group_size: 1
    .uses_dynamic_stack: false
    .vgpr_count:     3
    .vgpr_spill_count: 0
    .wavefront_size: 32
    .workgroup_processor_mode: 1
  - .args:
      - .offset:         0
        .size:           4
        .value_kind:     by_value
      - .offset:         4
        .size:           4
        .value_kind:     by_value
      - .offset:         8
        .size:           4
        .value_kind:     by_value
      - .address_space:  global
        .offset:         16
        .size:           8
        .value_kind:     global_buffer
      - .offset:         24
        .size:           4
        .value_kind:     by_value
      - .offset:         28
        .size:           4
        .value_kind:     by_value
      - .offset:         32
        .size:           8
        .value_kind:     by_value
      - .offset:         40
        .size:           4
        .value_kind:     hidden_block_count_x
      - .offset:         44
        .size:           4
        .value_kind:     hidden_block_count_y
      - .offset:         48
        .size:           4
        .value_kind:     hidden_block_count_z
      - .offset:         52
        .size:           2
        .value_kind:     hidden_group_size_x
      - .offset:         54
        .size:           2
        .value_kind:     hidden_group_size_y
      - .offset:         56
        .size:           2
        .value_kind:     hidden_group_size_z
      - .offset:         58
        .size:           2
        .value_kind:     hidden_remainder_x
      - .offset:         60
        .size:           2
        .value_kind:     hidden_remainder_y
      - .offset:         62
        .size:           2
        .value_kind:     hidden_remainder_z
      - .offset:         80
        .size:           8
        .value_kind:     hidden_global_offset_x
      - .offset:         88
        .size:           8
        .value_kind:     hidden_global_offset_y
      - .offset:         96
        .size:           8
        .value_kind:     hidden_global_offset_z
      - .offset:         104
        .size:           2
        .value_kind:     hidden_grid_dims
    .group_segment_fixed_size: 0
    .kernarg_segment_align: 8
    .kernarg_segment_size: 296
    .language:       OpenCL C
    .language_version:
      - 2
      - 0
    .max_flat_workgroup_size: 1024
    .name:           _ZN9rocsolver6v33100L16org2l_init_identIdPdEEviiiT0_iil
    .private_segment_fixed_size: 0
    .sgpr_count:     18
    .sgpr_spill_count: 0
    .symbol:         _ZN9rocsolver6v33100L16org2l_init_identIdPdEEviiiT0_iil.kd
    .uniform_work_group_size: 1
    .uses_dynamic_stack: false
    .vgpr_count:     5
    .vgpr_spill_count: 0
    .wavefront_size: 32
    .workgroup_processor_mode: 1
  - .args:
      - .offset:         0
        .size:           4
        .value_kind:     by_value
      - .offset:         4
        .size:           4
        .value_kind:     by_value
      - .address_space:  global
        .offset:         8
        .size:           8
        .value_kind:     global_buffer
      - .offset:         16
        .size:           8
        .value_kind:     by_value
      - .offset:         24
        .size:           4
        .value_kind:     by_value
      - .offset:         32
        .size:           8
        .value_kind:     by_value
      - .address_space:  global
        .offset:         40
        .size:           8
        .value_kind:     global_buffer
      - .offset:         48
        .size:           8
        .value_kind:     by_value
      - .address_space:  global
        .offset:         56
        .size:           8
        .value_kind:     global_buffer
      - .offset:         64
        .size:           8
        .value_kind:     by_value
      - .offset:         72
        .size:           4
        .value_kind:     by_value
      - .offset:         80
        .size:           8
        .value_kind:     by_value
    .group_segment_fixed_size: 0
    .kernarg_segment_align: 8
    .kernarg_segment_size: 88
    .language:       OpenCL C
    .language_version:
      - 2
      - 0
    .max_flat_workgroup_size: 1024
    .name:           _ZN9rocsolver6v33100L16larf_left_kernelILi1024EdiPdEEvT1_S3_T2_lS3_lPKT0_lS4_lS3_l
    .private_segment_fixed_size: 0
    .sgpr_count:     34
    .sgpr_spill_count: 0
    .symbol:         _ZN9rocsolver6v33100L16larf_left_kernelILi1024EdiPdEEvT1_S3_T2_lS3_lPKT0_lS4_lS3_l.kd
    .uniform_work_group_size: 1
    .uses_dynamic_stack: false
    .vgpr_count:     15
    .vgpr_spill_count: 0
    .wavefront_size: 32
    .workgroup_processor_mode: 1
  - .args:
      - .offset:         0
        .size:           4
        .value_kind:     by_value
      - .offset:         4
        .size:           4
        .value_kind:     by_value
      - .address_space:  global
        .offset:         8
        .size:           8
        .value_kind:     global_buffer
      - .offset:         16
        .size:           8
        .value_kind:     by_value
      - .offset:         24
        .size:           4
        .value_kind:     by_value
      - .offset:         32
        .size:           8
        .value_kind:     by_value
      - .address_space:  global
        .offset:         40
        .size:           8
        .value_kind:     global_buffer
      - .offset:         48
        .size:           8
        .value_kind:     by_value
      - .address_space:  global
        .offset:         56
        .size:           8
        .value_kind:     global_buffer
      - .offset:         64
        .size:           8
        .value_kind:     by_value
      - .offset:         72
        .size:           4
        .value_kind:     by_value
      - .offset:         80
        .size:           8
        .value_kind:     by_value
    .group_segment_fixed_size: 0
    .kernarg_segment_align: 8
    .kernarg_segment_size: 88
    .language:       OpenCL C
    .language_version:
      - 2
      - 0
    .max_flat_workgroup_size: 1024
    .name:           _ZN9rocsolver6v33100L17larf_right_kernelILi1024EdiPdEEvT1_S3_T2_lS3_lPKT0_lS4_lS3_l
    .private_segment_fixed_size: 0
    .sgpr_count:     36
    .sgpr_spill_count: 0
    .symbol:         _ZN9rocsolver6v33100L17larf_right_kernelILi1024EdiPdEEvT1_S3_T2_lS3_lPKT0_lS4_lS3_l.kd
    .uniform_work_group_size: 1
    .uses_dynamic_stack: false
    .vgpr_count:     15
    .vgpr_spill_count: 0
    .wavefront_size: 32
    .workgroup_processor_mode: 1
  - .args:
      - .offset:         0
        .size:           4
        .value_kind:     by_value
      - .offset:         4
        .size:           4
        .value_kind:     by_value
      - .address_space:  global
        .offset:         8
        .size:           8
        .value_kind:     global_buffer
      - .offset:         16
        .size:           4
        .value_kind:     by_value
      - .offset:         20
        .size:           4
        .value_kind:     by_value
      - .offset:         24
        .size:           8
        .value_kind:     by_value
      - .address_space:  global
        .offset:         32
        .size:           8
        .value_kind:     global_buffer
      - .offset:         40
        .size:           8
        .value_kind:     by_value
    .group_segment_fixed_size: 0
    .kernarg_segment_align: 8
    .kernarg_segment_size: 48
    .language:       OpenCL C
    .language_version:
      - 2
      - 0
    .max_flat_workgroup_size: 1024
    .name:           _ZN9rocsolver6v33100L12subtract_tauIdPdEEviiT0_iilPT_l
    .private_segment_fixed_size: 0
    .sgpr_count:     16
    .sgpr_spill_count: 0
    .symbol:         _ZN9rocsolver6v33100L12subtract_tauIdPdEEviiT0_iilPT_l.kd
    .uniform_work_group_size: 1
    .uses_dynamic_stack: false
    .vgpr_count:     5
    .vgpr_spill_count: 0
    .wavefront_size: 32
    .workgroup_processor_mode: 1
  - .args:
      - .offset:         0
        .size:           4
        .value_kind:     by_value
      - .address_space:  global
        .offset:         8
        .size:           8
        .value_kind:     global_buffer
      - .offset:         16
        .size:           8
        .value_kind:     by_value
      - .offset:         24
        .size:           4
        .value_kind:     hidden_block_count_x
      - .offset:         28
        .size:           4
        .value_kind:     hidden_block_count_y
      - .offset:         32
        .size:           4
        .value_kind:     hidden_block_count_z
      - .offset:         36
        .size:           2
        .value_kind:     hidden_group_size_x
      - .offset:         38
        .size:           2
        .value_kind:     hidden_group_size_y
      - .offset:         40
        .size:           2
        .value_kind:     hidden_group_size_z
      - .offset:         42
        .size:           2
        .value_kind:     hidden_remainder_x
      - .offset:         44
        .size:           2
        .value_kind:     hidden_remainder_y
      - .offset:         46
        .size:           2
        .value_kind:     hidden_remainder_z
      - .offset:         64
        .size:           8
        .value_kind:     hidden_global_offset_x
      - .offset:         72
        .size:           8
        .value_kind:     hidden_global_offset_y
      - .offset:         80
        .size:           8
        .value_kind:     hidden_global_offset_z
      - .offset:         88
        .size:           2
        .value_kind:     hidden_grid_dims
    .group_segment_fixed_size: 0
    .kernarg_segment_align: 8
    .kernarg_segment_size: 280
    .language:       OpenCL C
    .language_version:
      - 2
      - 0
    .max_flat_workgroup_size: 1024
    .name:           _ZN9rocsolver6v33100L6restauIdEEviPT_l
    .private_segment_fixed_size: 0
    .sgpr_count:     10
    .sgpr_spill_count: 0
    .symbol:         _ZN9rocsolver6v33100L6restauIdEEviPT_l.kd
    .uniform_work_group_size: 1
    .uses_dynamic_stack: false
    .vgpr_count:     4
    .vgpr_spill_count: 0
    .wavefront_size: 32
    .workgroup_processor_mode: 1
  - .args:
      - .address_space:  global
        .offset:         0
        .size:           8
        .value_kind:     global_buffer
      - .offset:         8
        .size:           4
        .value_kind:     by_value
      - .offset:         12
        .size:           8
        .value_kind:     by_value
    .group_segment_fixed_size: 0
    .kernarg_segment_align: 8
    .kernarg_segment_size: 20
    .language:       OpenCL C
    .language_version:
      - 2
      - 0
    .max_flat_workgroup_size: 32
    .name:           _ZN9rocsolver6v33100L6iota_nI19rocblas_complex_numIfEEEvPT_jS4_
    .private_segment_fixed_size: 0
    .sgpr_count:     8
    .sgpr_spill_count: 0
    .symbol:         _ZN9rocsolver6v33100L6iota_nI19rocblas_complex_numIfEEEvPT_jS4_.kd
    .uniform_work_group_size: 1
    .uses_dynamic_stack: false
    .vgpr_count:     3
    .vgpr_spill_count: 0
    .wavefront_size: 32
    .workgroup_processor_mode: 1
  - .args:
      - .offset:         0
        .size:           4
        .value_kind:     by_value
      - .offset:         4
        .size:           4
        .value_kind:     by_value
      - .offset:         8
        .size:           4
        .value_kind:     by_value
      - .address_space:  global
        .offset:         16
        .size:           8
        .value_kind:     global_buffer
      - .offset:         24
        .size:           4
        .value_kind:     by_value
      - .offset:         28
        .size:           4
        .value_kind:     by_value
      - .offset:         32
        .size:           8
        .value_kind:     by_value
      - .offset:         40
        .size:           4
        .value_kind:     hidden_block_count_x
      - .offset:         44
        .size:           4
        .value_kind:     hidden_block_count_y
      - .offset:         48
        .size:           4
        .value_kind:     hidden_block_count_z
      - .offset:         52
        .size:           2
        .value_kind:     hidden_group_size_x
      - .offset:         54
        .size:           2
        .value_kind:     hidden_group_size_y
      - .offset:         56
        .size:           2
        .value_kind:     hidden_group_size_z
      - .offset:         58
        .size:           2
        .value_kind:     hidden_remainder_x
      - .offset:         60
        .size:           2
        .value_kind:     hidden_remainder_y
      - .offset:         62
        .size:           2
        .value_kind:     hidden_remainder_z
      - .offset:         80
        .size:           8
        .value_kind:     hidden_global_offset_x
      - .offset:         88
        .size:           8
        .value_kind:     hidden_global_offset_y
      - .offset:         96
        .size:           8
        .value_kind:     hidden_global_offset_z
      - .offset:         104
        .size:           2
        .value_kind:     hidden_grid_dims
    .group_segment_fixed_size: 0
    .kernarg_segment_align: 8
    .kernarg_segment_size: 296
    .language:       OpenCL C
    .language_version:
      - 2
      - 0
    .max_flat_workgroup_size: 1024
    .name:           _ZN9rocsolver6v33100L16org2l_init_identI19rocblas_complex_numIfEPS3_EEviiiT0_iil
    .private_segment_fixed_size: 0
    .sgpr_count:     18
    .sgpr_spill_count: 0
    .symbol:         _ZN9rocsolver6v33100L16org2l_init_identI19rocblas_complex_numIfEPS3_EEviiiT0_iil.kd
    .uniform_work_group_size: 1
    .uses_dynamic_stack: false
    .vgpr_count:     4
    .vgpr_spill_count: 0
    .wavefront_size: 32
    .workgroup_processor_mode: 1
  - .args:
      - .offset:         0
        .size:           4
        .value_kind:     by_value
      - .offset:         4
        .size:           4
        .value_kind:     by_value
      - .address_space:  global
        .offset:         8
        .size:           8
        .value_kind:     global_buffer
      - .offset:         16
        .size:           8
        .value_kind:     by_value
      - .offset:         24
        .size:           4
        .value_kind:     by_value
      - .offset:         32
        .size:           8
        .value_kind:     by_value
      - .address_space:  global
        .offset:         40
        .size:           8
        .value_kind:     global_buffer
      - .offset:         48
        .size:           8
        .value_kind:     by_value
      - .address_space:  global
        .offset:         56
        .size:           8
        .value_kind:     global_buffer
      - .offset:         64
        .size:           8
        .value_kind:     by_value
      - .offset:         72
        .size:           4
        .value_kind:     by_value
      - .offset:         80
        .size:           8
        .value_kind:     by_value
    .group_segment_fixed_size: 0
    .kernarg_segment_align: 8
    .kernarg_segment_size: 88
    .language:       OpenCL C
    .language_version:
      - 2
      - 0
    .max_flat_workgroup_size: 1024
    .name:           _ZN9rocsolver6v33100L16larf_left_kernelILi1024E19rocblas_complex_numIfEiPS3_EEvT1_S5_T2_lS5_lPKT0_lS6_lS5_l
    .private_segment_fixed_size: 0
    .sgpr_count:     34
    .sgpr_spill_count: 0
    .symbol:         _ZN9rocsolver6v33100L16larf_left_kernelILi1024E19rocblas_complex_numIfEiPS3_EEvT1_S5_T2_lS5_lPKT0_lS6_lS5_l.kd
    .uniform_work_group_size: 1
    .uses_dynamic_stack: false
    .vgpr_count:     17
    .vgpr_spill_count: 0
    .wavefront_size: 32
    .workgroup_processor_mode: 1
  - .args:
      - .offset:         0
        .size:           4
        .value_kind:     by_value
      - .offset:         4
        .size:           4
        .value_kind:     by_value
      - .address_space:  global
        .offset:         8
        .size:           8
        .value_kind:     global_buffer
      - .offset:         16
        .size:           8
        .value_kind:     by_value
      - .offset:         24
        .size:           4
        .value_kind:     by_value
      - .offset:         32
        .size:           8
        .value_kind:     by_value
      - .address_space:  global
        .offset:         40
        .size:           8
        .value_kind:     global_buffer
      - .offset:         48
        .size:           8
        .value_kind:     by_value
      - .address_space:  global
        .offset:         56
        .size:           8
        .value_kind:     global_buffer
      - .offset:         64
        .size:           8
        .value_kind:     by_value
      - .offset:         72
        .size:           4
        .value_kind:     by_value
      - .offset:         80
        .size:           8
        .value_kind:     by_value
    .group_segment_fixed_size: 0
    .kernarg_segment_align: 8
    .kernarg_segment_size: 88
    .language:       OpenCL C
    .language_version:
      - 2
      - 0
    .max_flat_workgroup_size: 1024
    .name:           _ZN9rocsolver6v33100L17larf_right_kernelILi1024E19rocblas_complex_numIfEiPS3_EEvT1_S5_T2_lS5_lPKT0_lS6_lS5_l
    .private_segment_fixed_size: 0
    .sgpr_count:     36
    .sgpr_spill_count: 0
    .symbol:         _ZN9rocsolver6v33100L17larf_right_kernelILi1024E19rocblas_complex_numIfEiPS3_EEvT1_S5_T2_lS5_lPKT0_lS6_lS5_l.kd
    .uniform_work_group_size: 1
    .uses_dynamic_stack: false
    .vgpr_count:     17
    .vgpr_spill_count: 0
    .wavefront_size: 32
    .workgroup_processor_mode: 1
  - .args:
      - .offset:         0
        .size:           4
        .value_kind:     by_value
      - .offset:         4
        .size:           4
        .value_kind:     by_value
      - .address_space:  global
        .offset:         8
        .size:           8
        .value_kind:     global_buffer
      - .offset:         16
        .size:           4
        .value_kind:     by_value
      - .offset:         20
        .size:           4
        .value_kind:     by_value
      - .offset:         24
        .size:           8
        .value_kind:     by_value
      - .address_space:  global
        .offset:         32
        .size:           8
        .value_kind:     global_buffer
      - .offset:         40
        .size:           8
        .value_kind:     by_value
    .group_segment_fixed_size: 0
    .kernarg_segment_align: 8
    .kernarg_segment_size: 48
    .language:       OpenCL C
    .language_version:
      - 2
      - 0
    .max_flat_workgroup_size: 1024
    .name:           _ZN9rocsolver6v33100L12subtract_tauI19rocblas_complex_numIfEPS3_EEviiT0_iilPT_l
    .private_segment_fixed_size: 0
    .sgpr_count:     16
    .sgpr_spill_count: 0
    .symbol:         _ZN9rocsolver6v33100L12subtract_tauI19rocblas_complex_numIfEPS3_EEviiT0_iilPT_l.kd
    .uniform_work_group_size: 1
    .uses_dynamic_stack: false
    .vgpr_count:     3
    .vgpr_spill_count: 0
    .wavefront_size: 32
    .workgroup_processor_mode: 1
  - .args:
      - .offset:         0
        .size:           4
        .value_kind:     by_value
      - .address_space:  global
        .offset:         8
        .size:           8
        .value_kind:     global_buffer
      - .offset:         16
        .size:           8
        .value_kind:     by_value
      - .offset:         24
        .size:           4
        .value_kind:     hidden_block_count_x
      - .offset:         28
        .size:           4
        .value_kind:     hidden_block_count_y
      - .offset:         32
        .size:           4
        .value_kind:     hidden_block_count_z
      - .offset:         36
        .size:           2
        .value_kind:     hidden_group_size_x
      - .offset:         38
        .size:           2
        .value_kind:     hidden_group_size_y
      - .offset:         40
        .size:           2
        .value_kind:     hidden_group_size_z
      - .offset:         42
        .size:           2
        .value_kind:     hidden_remainder_x
      - .offset:         44
        .size:           2
        .value_kind:     hidden_remainder_y
      - .offset:         46
        .size:           2
        .value_kind:     hidden_remainder_z
      - .offset:         64
        .size:           8
        .value_kind:     hidden_global_offset_x
      - .offset:         72
        .size:           8
        .value_kind:     hidden_global_offset_y
      - .offset:         80
        .size:           8
        .value_kind:     hidden_global_offset_z
      - .offset:         88
        .size:           2
        .value_kind:     hidden_grid_dims
    .group_segment_fixed_size: 0
    .kernarg_segment_align: 8
    .kernarg_segment_size: 280
    .language:       OpenCL C
    .language_version:
      - 2
      - 0
    .max_flat_workgroup_size: 1024
    .name:           _ZN9rocsolver6v33100L6restauI19rocblas_complex_numIfEEEviPT_l
    .private_segment_fixed_size: 0
    .sgpr_count:     10
    .sgpr_spill_count: 0
    .symbol:         _ZN9rocsolver6v33100L6restauI19rocblas_complex_numIfEEEviPT_l.kd
    .uniform_work_group_size: 1
    .uses_dynamic_stack: false
    .vgpr_count:     4
    .vgpr_spill_count: 0
    .wavefront_size: 32
    .workgroup_processor_mode: 1
  - .args:
      - .address_space:  global
        .offset:         0
        .size:           8
        .value_kind:     global_buffer
      - .offset:         8
        .size:           4
        .value_kind:     by_value
      - .offset:         16
        .size:           16
        .value_kind:     by_value
    .group_segment_fixed_size: 0
    .kernarg_segment_align: 8
    .kernarg_segment_size: 32
    .language:       OpenCL C
    .language_version:
      - 2
      - 0
    .max_flat_workgroup_size: 32
    .name:           _ZN9rocsolver6v33100L6iota_nI19rocblas_complex_numIdEEEvPT_jS4_
    .private_segment_fixed_size: 0
    .sgpr_count:     8
    .sgpr_spill_count: 0
    .symbol:         _ZN9rocsolver6v33100L6iota_nI19rocblas_complex_numIdEEEvPT_jS4_.kd
    .uniform_work_group_size: 1
    .uses_dynamic_stack: false
    .vgpr_count:     5
    .vgpr_spill_count: 0
    .wavefront_size: 32
    .workgroup_processor_mode: 1
  - .args:
      - .offset:         0
        .size:           4
        .value_kind:     by_value
      - .offset:         4
        .size:           4
        .value_kind:     by_value
      - .offset:         8
        .size:           4
        .value_kind:     by_value
      - .address_space:  global
        .offset:         16
        .size:           8
        .value_kind:     global_buffer
      - .offset:         24
        .size:           4
        .value_kind:     by_value
      - .offset:         28
        .size:           4
        .value_kind:     by_value
      - .offset:         32
        .size:           8
        .value_kind:     by_value
      - .offset:         40
        .size:           4
        .value_kind:     hidden_block_count_x
      - .offset:         44
        .size:           4
        .value_kind:     hidden_block_count_y
      - .offset:         48
        .size:           4
        .value_kind:     hidden_block_count_z
      - .offset:         52
        .size:           2
        .value_kind:     hidden_group_size_x
      - .offset:         54
        .size:           2
        .value_kind:     hidden_group_size_y
      - .offset:         56
        .size:           2
        .value_kind:     hidden_group_size_z
      - .offset:         58
        .size:           2
        .value_kind:     hidden_remainder_x
      - .offset:         60
        .size:           2
        .value_kind:     hidden_remainder_y
      - .offset:         62
        .size:           2
        .value_kind:     hidden_remainder_z
      - .offset:         80
        .size:           8
        .value_kind:     hidden_global_offset_x
      - .offset:         88
        .size:           8
        .value_kind:     hidden_global_offset_y
      - .offset:         96
        .size:           8
        .value_kind:     hidden_global_offset_z
      - .offset:         104
        .size:           2
        .value_kind:     hidden_grid_dims
    .group_segment_fixed_size: 0
    .kernarg_segment_align: 8
    .kernarg_segment_size: 296
    .language:       OpenCL C
    .language_version:
      - 2
      - 0
    .max_flat_workgroup_size: 1024
    .name:           _ZN9rocsolver6v33100L16org2l_init_identI19rocblas_complex_numIdEPS3_EEviiiT0_iil
    .private_segment_fixed_size: 0
    .sgpr_count:     18
    .sgpr_spill_count: 0
    .symbol:         _ZN9rocsolver6v33100L16org2l_init_identI19rocblas_complex_numIdEPS3_EEviiiT0_iil.kd
    .uniform_work_group_size: 1
    .uses_dynamic_stack: false
    .vgpr_count:     7
    .vgpr_spill_count: 0
    .wavefront_size: 32
    .workgroup_processor_mode: 1
  - .args:
      - .offset:         0
        .size:           4
        .value_kind:     by_value
      - .offset:         4
        .size:           4
        .value_kind:     by_value
      - .address_space:  global
        .offset:         8
        .size:           8
        .value_kind:     global_buffer
      - .offset:         16
        .size:           8
        .value_kind:     by_value
      - .offset:         24
        .size:           4
        .value_kind:     by_value
      - .offset:         32
        .size:           8
        .value_kind:     by_value
      - .address_space:  global
        .offset:         40
        .size:           8
        .value_kind:     global_buffer
      - .offset:         48
        .size:           8
        .value_kind:     by_value
      - .address_space:  global
        .offset:         56
        .size:           8
        .value_kind:     global_buffer
      - .offset:         64
        .size:           8
        .value_kind:     by_value
      - .offset:         72
        .size:           4
        .value_kind:     by_value
      - .offset:         80
        .size:           8
        .value_kind:     by_value
    .group_segment_fixed_size: 0
    .kernarg_segment_align: 8
    .kernarg_segment_size: 88
    .language:       OpenCL C
    .language_version:
      - 2
      - 0
    .max_flat_workgroup_size: 1024
    .name:           _ZN9rocsolver6v33100L16larf_left_kernelILi1024E19rocblas_complex_numIdEiPS3_EEvT1_S5_T2_lS5_lPKT0_lS6_lS5_l
    .private_segment_fixed_size: 0
    .sgpr_count:     34
    .sgpr_spill_count: 0
    .symbol:         _ZN9rocsolver6v33100L16larf_left_kernelILi1024E19rocblas_complex_numIdEiPS3_EEvT1_S5_T2_lS5_lPKT0_lS6_lS5_l.kd
    .uniform_work_group_size: 1
    .uses_dynamic_stack: false
    .vgpr_count:     20
    .vgpr_spill_count: 0
    .wavefront_size: 32
    .workgroup_processor_mode: 1
  - .args:
      - .offset:         0
        .size:           4
        .value_kind:     by_value
      - .offset:         4
        .size:           4
        .value_kind:     by_value
      - .address_space:  global
        .offset:         8
        .size:           8
        .value_kind:     global_buffer
      - .offset:         16
        .size:           8
        .value_kind:     by_value
      - .offset:         24
        .size:           4
        .value_kind:     by_value
      - .offset:         32
        .size:           8
        .value_kind:     by_value
      - .address_space:  global
        .offset:         40
        .size:           8
        .value_kind:     global_buffer
      - .offset:         48
        .size:           8
        .value_kind:     by_value
      - .address_space:  global
        .offset:         56
        .size:           8
        .value_kind:     global_buffer
      - .offset:         64
        .size:           8
        .value_kind:     by_value
      - .offset:         72
        .size:           4
        .value_kind:     by_value
      - .offset:         80
        .size:           8
        .value_kind:     by_value
    .group_segment_fixed_size: 0
    .kernarg_segment_align: 8
    .kernarg_segment_size: 88
    .language:       OpenCL C
    .language_version:
      - 2
      - 0
    .max_flat_workgroup_size: 1024
    .name:           _ZN9rocsolver6v33100L17larf_right_kernelILi1024E19rocblas_complex_numIdEiPS3_EEvT1_S5_T2_lS5_lPKT0_lS6_lS5_l
    .private_segment_fixed_size: 0
    .sgpr_count:     36
    .sgpr_spill_count: 0
    .symbol:         _ZN9rocsolver6v33100L17larf_right_kernelILi1024E19rocblas_complex_numIdEiPS3_EEvT1_S5_T2_lS5_lPKT0_lS6_lS5_l.kd
    .uniform_work_group_size: 1
    .uses_dynamic_stack: false
    .vgpr_count:     20
    .vgpr_spill_count: 0
    .wavefront_size: 32
    .workgroup_processor_mode: 1
  - .args:
      - .offset:         0
        .size:           4
        .value_kind:     by_value
      - .offset:         4
        .size:           4
        .value_kind:     by_value
      - .address_space:  global
        .offset:         8
        .size:           8
        .value_kind:     global_buffer
      - .offset:         16
        .size:           4
        .value_kind:     by_value
      - .offset:         20
        .size:           4
        .value_kind:     by_value
      - .offset:         24
        .size:           8
        .value_kind:     by_value
      - .address_space:  global
        .offset:         32
        .size:           8
        .value_kind:     global_buffer
      - .offset:         40
        .size:           8
        .value_kind:     by_value
    .group_segment_fixed_size: 0
    .kernarg_segment_align: 8
    .kernarg_segment_size: 48
    .language:       OpenCL C
    .language_version:
      - 2
      - 0
    .max_flat_workgroup_size: 1024
    .name:           _ZN9rocsolver6v33100L12subtract_tauI19rocblas_complex_numIdEPS3_EEviiT0_iilPT_l
    .private_segment_fixed_size: 0
    .sgpr_count:     16
    .sgpr_spill_count: 0
    .symbol:         _ZN9rocsolver6v33100L12subtract_tauI19rocblas_complex_numIdEPS3_EEviiT0_iilPT_l.kd
    .uniform_work_group_size: 1
    .uses_dynamic_stack: false
    .vgpr_count:     5
    .vgpr_spill_count: 0
    .wavefront_size: 32
    .workgroup_processor_mode: 1
  - .args:
      - .offset:         0
        .size:           4
        .value_kind:     by_value
      - .address_space:  global
        .offset:         8
        .size:           8
        .value_kind:     global_buffer
      - .offset:         16
        .size:           8
        .value_kind:     by_value
      - .offset:         24
        .size:           4
        .value_kind:     hidden_block_count_x
      - .offset:         28
        .size:           4
        .value_kind:     hidden_block_count_y
      - .offset:         32
        .size:           4
        .value_kind:     hidden_block_count_z
      - .offset:         36
        .size:           2
        .value_kind:     hidden_group_size_x
      - .offset:         38
        .size:           2
        .value_kind:     hidden_group_size_y
      - .offset:         40
        .size:           2
        .value_kind:     hidden_group_size_z
      - .offset:         42
        .size:           2
        .value_kind:     hidden_remainder_x
      - .offset:         44
        .size:           2
        .value_kind:     hidden_remainder_y
      - .offset:         46
        .size:           2
        .value_kind:     hidden_remainder_z
      - .offset:         64
        .size:           8
        .value_kind:     hidden_global_offset_x
      - .offset:         72
        .size:           8
        .value_kind:     hidden_global_offset_y
      - .offset:         80
        .size:           8
        .value_kind:     hidden_global_offset_z
      - .offset:         88
        .size:           2
        .value_kind:     hidden_grid_dims
    .group_segment_fixed_size: 0
    .kernarg_segment_align: 8
    .kernarg_segment_size: 280
    .language:       OpenCL C
    .language_version:
      - 2
      - 0
    .max_flat_workgroup_size: 1024
    .name:           _ZN9rocsolver6v33100L6restauI19rocblas_complex_numIdEEEviPT_l
    .private_segment_fixed_size: 0
    .sgpr_count:     10
    .sgpr_spill_count: 0
    .symbol:         _ZN9rocsolver6v33100L6restauI19rocblas_complex_numIdEEEviPT_l.kd
    .uniform_work_group_size: 1
    .uses_dynamic_stack: false
    .vgpr_count:     6
    .vgpr_spill_count: 0
    .wavefront_size: 32
    .workgroup_processor_mode: 1
amdhsa.target:   amdgcn-amd-amdhsa--gfx1030
amdhsa.version:
  - 1
  - 2
...

	.end_amdgpu_metadata
